;; amdgpu-corpus repo=ROCm/rocFFT kind=compiled arch=gfx906 opt=O3
	.text
	.amdgcn_target "amdgcn-amd-amdhsa--gfx906"
	.amdhsa_code_object_version 6
	.protected	bluestein_single_fwd_len3000_dim1_dp_op_CI_CI ; -- Begin function bluestein_single_fwd_len3000_dim1_dp_op_CI_CI
	.globl	bluestein_single_fwd_len3000_dim1_dp_op_CI_CI
	.p2align	8
	.type	bluestein_single_fwd_len3000_dim1_dp_op_CI_CI,@function
bluestein_single_fwd_len3000_dim1_dp_op_CI_CI: ; @bluestein_single_fwd_len3000_dim1_dp_op_CI_CI
; %bb.0:
	s_load_dwordx4 s[12:15], s[4:5], 0x28
	s_mov_b64 s[38:39], s[2:3]
	v_mul_u32_u24_e32 v3, 0x290, v0
	s_mov_b64 s[36:37], s[0:1]
	v_add_u32_sdwa v1, s6, v3 dst_sel:DWORD dst_unused:UNUSED_PAD src0_sel:DWORD src1_sel:WORD_1
	v_mov_b32_e32 v2, 0
	s_add_u32 s36, s36, s7
	s_waitcnt lgkmcnt(0)
	v_cmp_gt_u64_e32 vcc, s[12:13], v[1:2]
	s_addc_u32 s37, s37, 0
	s_and_saveexec_b64 s[0:1], vcc
	s_cbranch_execz .LBB0_2
; %bb.1:
	s_load_dwordx4 s[8:11], s[4:5], 0x0
	s_load_dwordx4 s[20:23], s[4:5], 0x18
	s_load_dwordx2 s[12:13], s[4:5], 0x38
	s_movk_i32 s16, 0x64
	v_mul_lo_u16_sdwa v2, v3, s16 dst_sel:DWORD dst_unused:UNUSED_PAD src0_sel:WORD_1 src1_sel:DWORD
	v_sub_u16_e32 v168, v0, v2
	s_waitcnt lgkmcnt(0)
	s_load_dwordx4 s[0:3], s[22:23], 0x0
	v_lshlrev_b32_e32 v120, 4, v168
	s_movk_i32 s29, 0x12c
	s_movk_i32 s28, 0x1000
	s_movk_i32 s27, 0x4000
	s_waitcnt lgkmcnt(0)
	v_mad_u64_u32 v[4:5], s[4:5], s2, v1, 0
	s_mov_b32 s26, 0x8000
                                        ; kill: killed $sgpr8_sgpr9
	s_mov_b32 s19, 0xbfd3c6ef
	v_mov_b32_e32 v0, v5
	v_mad_u64_u32 v[2:3], s[2:3], s3, v1, v[0:1]
	s_movk_i32 s22, 0xcd
	s_mov_b32 s25, 0xbfebb67a
	v_mov_b32_e32 v5, v2
	buffer_store_dword v4, off, s[36:39], 0 offset:16 ; 4-byte Folded Spill
	s_nop 0
	buffer_store_dword v5, off, s[36:39], 0 offset:20 ; 4-byte Folded Spill
	global_load_dwordx4 v[10:13], v120, s[8:9]
	s_load_dwordx4 s[4:7], s[20:21], 0x0
	s_mov_b32 s21, 0xbfe9e377
	s_movk_i32 s31, 0x89
	s_movk_i32 s30, 0x90
	v_mov_b32_e32 v176, v168
	s_waitcnt lgkmcnt(0)
	v_mad_u64_u32 v[2:3], s[2:3], s6, v1, 0
	s_movk_i32 s6, 0x258
	v_mov_b32_e32 v0, v3
	v_mad_u64_u32 v[0:1], s[2:3], s7, v1, v[0:1]
	v_mov_b32_e32 v3, v0
	v_mad_u64_u32 v[0:1], s[2:3], s4, v168, 0
	v_mad_u64_u32 v[4:5], s[2:3], s5, v168, v[1:2]
	v_lshlrev_b64 v[2:3], 4, v[2:3]
	s_mul_i32 s2, s5, 0x12c0
	v_mov_b32_e32 v1, v4
	v_add_co_u32_e32 v2, vcc, s14, v2
	v_mov_b32_e32 v4, s15
	v_lshlrev_b64 v[0:1], 4, v[0:1]
	v_addc_co_u32_e32 v3, vcc, v4, v3, vcc
	v_add_co_u32_e32 v8, vcc, v2, v0
	v_addc_co_u32_e32 v9, vcc, v3, v1, vcc
	global_load_dwordx4 v[0:3], v[8:9], off
	v_add_co_u32_e32 v148, vcc, s8, v120
	v_mov_b32_e32 v4, s9
	v_addc_co_u32_e32 v153, vcc, 0, v4, vcc
	s_mul_hi_u32 s3, s4, 0x12c0
	v_add_co_u32_e32 v128, vcc, s29, v168
	s_add_i32 s2, s3, s2
	s_mul_i32 s3, s4, 0x12c0
	v_add_co_u32_e32 v8, vcc, s3, v8
	s_mul_i32 s5, s5, 0xffff5d80
	s_sub_i32 s5, s5, s4
	s_mov_b32 s15, 0xbfe2cf23
	s_waitcnt vmcnt(1)
	buffer_store_dword v10, off, s[36:39], 0 offset:24 ; 4-byte Folded Spill
	s_nop 0
	buffer_store_dword v11, off, s[36:39], 0 offset:28 ; 4-byte Folded Spill
	buffer_store_dword v12, off, s[36:39], 0 offset:32 ; 4-byte Folded Spill
	;; [unrolled: 1-line block ×3, first 2 shown]
	s_waitcnt vmcnt(4)
	v_mul_f64 v[4:5], v[2:3], v[12:13]
	v_fma_f64 v[4:5], v[0:1], v[10:11], v[4:5]
	v_mul_f64 v[0:1], v[0:1], v[12:13]
	v_fma_f64 v[6:7], v[2:3], v[10:11], -v[0:1]
	v_mov_b32_e32 v0, s2
	v_addc_co_u32_e32 v9, vcc, v9, v0, vcc
	v_add_co_u32_e32 v12, vcc, s28, v148
	v_addc_co_u32_e32 v13, vcc, 0, v153, vcc
	global_load_dwordx4 v[14:17], v[12:13], off offset:704
	global_load_dwordx4 v[0:3], v[8:9], off
	ds_write_b128 v120, v[4:7]
	v_add_co_u32_e32 v130, vcc, s6, v168
	v_add_co_u32_e32 v8, vcc, s3, v8
	s_movk_i32 s6, 0x2000
                                        ; kill: killed $vgpr12 killed $vgpr13
	s_waitcnt vmcnt(1)
	buffer_store_dword v14, off, s[36:39], 0 offset:40 ; 4-byte Folded Spill
	s_nop 0
	buffer_store_dword v15, off, s[36:39], 0 offset:44 ; 4-byte Folded Spill
	buffer_store_dword v16, off, s[36:39], 0 offset:48 ; 4-byte Folded Spill
	;; [unrolled: 1-line block ×3, first 2 shown]
	s_waitcnt vmcnt(4)
	v_mul_f64 v[4:5], v[2:3], v[16:17]
	v_fma_f64 v[4:5], v[0:1], v[14:15], v[4:5]
	v_mul_f64 v[0:1], v[0:1], v[16:17]
	v_fma_f64 v[6:7], v[2:3], v[14:15], -v[0:1]
	v_mov_b32_e32 v0, s2
	v_addc_co_u32_e32 v9, vcc, v9, v0, vcc
	v_add_co_u32_e32 v22, vcc, s6, v148
	v_addc_co_u32_e32 v23, vcc, 0, v153, vcc
	global_load_dwordx4 v[14:17], v[22:23], off offset:1408
	global_load_dwordx4 v[0:3], v[8:9], off
	ds_write_b128 v120, v[4:7] offset:4800
	s_movk_i32 s6, 0x384
	v_add_co_u32_e32 v136, vcc, s6, v168
	s_movk_i32 s6, 0x3000
                                        ; kill: killed $vgpr22 killed $vgpr23
	s_waitcnt vmcnt(1)
	buffer_store_dword v14, off, s[36:39], 0 offset:56 ; 4-byte Folded Spill
	s_nop 0
	buffer_store_dword v15, off, s[36:39], 0 offset:60 ; 4-byte Folded Spill
	buffer_store_dword v16, off, s[36:39], 0 offset:64 ; 4-byte Folded Spill
	;; [unrolled: 1-line block ×3, first 2 shown]
	s_waitcnt vmcnt(4)
	v_mul_f64 v[4:5], v[2:3], v[16:17]
	v_fma_f64 v[4:5], v[0:1], v[14:15], v[4:5]
	v_mul_f64 v[0:1], v[0:1], v[16:17]
	v_fma_f64 v[6:7], v[2:3], v[14:15], -v[0:1]
	v_add_co_u32_e32 v0, vcc, s3, v8
	v_mov_b32_e32 v1, s2
	v_addc_co_u32_e32 v1, vcc, v9, v1, vcc
	v_add_co_u32_e32 v2, vcc, s6, v148
	v_addc_co_u32_e32 v3, vcc, 0, v153, vcc
	global_load_dwordx4 v[14:17], v[2:3], off offset:2112
	ds_write_b128 v120, v[4:7] offset:9600
	global_load_dwordx4 v[4:7], v[0:1], off
	v_add_co_u32_e32 v0, vcc, s3, v0
	s_movk_i32 s6, 0x5000
                                        ; kill: killed $vgpr2 killed $vgpr3
	s_waitcnt vmcnt(1)
	buffer_store_dword v14, off, s[36:39], 0 offset:72 ; 4-byte Folded Spill
	s_nop 0
	buffer_store_dword v15, off, s[36:39], 0 offset:76 ; 4-byte Folded Spill
	buffer_store_dword v16, off, s[36:39], 0 offset:80 ; 4-byte Folded Spill
	;; [unrolled: 1-line block ×3, first 2 shown]
	s_waitcnt vmcnt(4)
	v_mul_f64 v[8:9], v[6:7], v[16:17]
	v_fma_f64 v[8:9], v[4:5], v[14:15], v[8:9]
	v_mul_f64 v[4:5], v[4:5], v[16:17]
	v_fma_f64 v[10:11], v[6:7], v[14:15], -v[4:5]
	v_mov_b32_e32 v4, s2
	v_addc_co_u32_e32 v1, vcc, v1, v4, vcc
	v_add_co_u32_e32 v4, vcc, s27, v148
	v_addc_co_u32_e32 v5, vcc, 0, v153, vcc
	global_load_dwordx4 v[16:19], v[4:5], off offset:2816
	ds_write_b128 v120, v[8:11] offset:14400
	global_load_dwordx4 v[6:9], v[0:1], off
	v_add_co_u32_e32 v0, vcc, s3, v0
	s_waitcnt vmcnt(1)
	buffer_store_dword v16, off, s[36:39], 0 offset:88 ; 4-byte Folded Spill
	s_nop 0
	buffer_store_dword v17, off, s[36:39], 0 offset:92 ; 4-byte Folded Spill
	buffer_store_dword v18, off, s[36:39], 0 offset:96 ; 4-byte Folded Spill
	;; [unrolled: 1-line block ×3, first 2 shown]
	s_waitcnt vmcnt(4)
	v_mul_f64 v[10:11], v[8:9], v[18:19]
	v_fma_f64 v[14:15], v[6:7], v[16:17], v[10:11]
	v_mul_f64 v[6:7], v[6:7], v[18:19]
	v_fma_f64 v[16:17], v[8:9], v[16:17], -v[6:7]
	v_mov_b32_e32 v6, s2
	v_addc_co_u32_e32 v1, vcc, v1, v6, vcc
	v_add_co_u32_e32 v6, vcc, s6, v148
	v_addc_co_u32_e32 v7, vcc, 0, v153, vcc
	ds_write_b128 v120, v[14:17] offset:19200
	global_load_dwordx4 v[16:19], v[6:7], off offset:3520
	global_load_dwordx4 v[8:11], v[0:1], off
	v_add_co_u32_e32 v0, vcc, s3, v0
	s_movk_i32 s6, 0x7000
	s_waitcnt vmcnt(1)
	buffer_store_dword v16, off, s[36:39], 0 offset:104 ; 4-byte Folded Spill
	s_nop 0
	buffer_store_dword v17, off, s[36:39], 0 offset:108 ; 4-byte Folded Spill
	buffer_store_dword v18, off, s[36:39], 0 offset:112 ; 4-byte Folded Spill
	;; [unrolled: 1-line block ×3, first 2 shown]
	s_waitcnt vmcnt(4)
	v_mul_f64 v[14:15], v[10:11], v[18:19]
	v_fma_f64 v[14:15], v[8:9], v[16:17], v[14:15]
	v_mul_f64 v[8:9], v[8:9], v[18:19]
	v_fma_f64 v[16:17], v[10:11], v[16:17], -v[8:9]
	v_mov_b32_e32 v8, s2
	v_addc_co_u32_e32 v1, vcc, v1, v8, vcc
	v_add_co_u32_e32 v8, vcc, s6, v148
	v_addc_co_u32_e32 v9, vcc, 0, v153, vcc
	global_load_dwordx4 v[24:27], v[8:9], off offset:128
	ds_write_b128 v120, v[14:17] offset:24000
	global_load_dwordx4 v[14:17], v[0:1], off
	v_add_co_u32_e32 v0, vcc, s3, v0
	s_mov_b32 s6, 0x9000
	s_waitcnt vmcnt(1)
	buffer_store_dword v24, off, s[36:39], 0 offset:120 ; 4-byte Folded Spill
	s_nop 0
	buffer_store_dword v25, off, s[36:39], 0 offset:124 ; 4-byte Folded Spill
	buffer_store_dword v26, off, s[36:39], 0 offset:128 ; 4-byte Folded Spill
	;; [unrolled: 1-line block ×3, first 2 shown]
	s_waitcnt vmcnt(4)
	v_mul_f64 v[10:11], v[16:17], v[26:27]
	v_fma_f64 v[18:19], v[14:15], v[24:25], v[10:11]
	v_mul_f64 v[10:11], v[14:15], v[26:27]
	v_fma_f64 v[20:21], v[16:17], v[24:25], -v[10:11]
	v_mov_b32_e32 v10, s2
	v_addc_co_u32_e32 v1, vcc, v1, v10, vcc
	v_add_co_u32_e32 v10, vcc, s26, v148
	v_addc_co_u32_e32 v11, vcc, 0, v153, vcc
	global_load_dwordx4 v[24:27], v[10:11], off offset:832
	global_load_dwordx4 v[14:17], v[0:1], off
	ds_write_b128 v120, v[18:21] offset:28800
	v_add_co_u32_e32 v0, vcc, s3, v0
	s_waitcnt vmcnt(1)
	buffer_store_dword v24, off, s[36:39], 0 offset:136 ; 4-byte Folded Spill
	s_nop 0
	buffer_store_dword v25, off, s[36:39], 0 offset:140 ; 4-byte Folded Spill
	buffer_store_dword v26, off, s[36:39], 0 offset:144 ; 4-byte Folded Spill
	;; [unrolled: 1-line block ×3, first 2 shown]
	s_waitcnt vmcnt(4)
	v_mul_f64 v[18:19], v[16:17], v[26:27]
	v_fma_f64 v[18:19], v[14:15], v[24:25], v[18:19]
	v_mul_f64 v[14:15], v[14:15], v[26:27]
	v_fma_f64 v[20:21], v[16:17], v[24:25], -v[14:15]
	v_mov_b32_e32 v14, s2
	v_addc_co_u32_e32 v1, vcc, v1, v14, vcc
	v_add_co_u32_e32 v24, vcc, s6, v148
	v_addc_co_u32_e32 v25, vcc, 0, v153, vcc
	global_load_dwordx4 v[26:29], v[24:25], off offset:1536
	global_load_dwordx4 v[14:17], v[0:1], off
	ds_write_b128 v120, v[18:21] offset:33600
	s_mov_b32 s6, 0xa000
                                        ; kill: killed $vgpr24 killed $vgpr25
	s_waitcnt vmcnt(1)
	buffer_store_dword v26, off, s[36:39], 0 offset:152 ; 4-byte Folded Spill
	s_nop 0
	buffer_store_dword v27, off, s[36:39], 0 offset:156 ; 4-byte Folded Spill
	buffer_store_dword v28, off, s[36:39], 0 offset:160 ; 4-byte Folded Spill
	buffer_store_dword v29, off, s[36:39], 0 offset:164 ; 4-byte Folded Spill
	s_waitcnt vmcnt(4)
	v_mul_f64 v[18:19], v[16:17], v[28:29]
	v_fma_f64 v[18:19], v[14:15], v[26:27], v[18:19]
	v_mul_f64 v[14:15], v[14:15], v[28:29]
	v_fma_f64 v[20:21], v[16:17], v[26:27], -v[14:15]
	v_add_co_u32_e32 v26, vcc, s3, v0
	v_mov_b32_e32 v0, s2
	v_addc_co_u32_e32 v27, vcc, v1, v0, vcc
	v_add_co_u32_e32 v0, vcc, s6, v148
	v_addc_co_u32_e32 v1, vcc, 0, v153, vcc
	global_load_dwordx4 v[28:31], v[0:1], off offset:2240
	global_load_dwordx4 v[14:17], v[26:27], off
	ds_write_b128 v120, v[18:21] offset:38400
	v_add_co_u32_e32 v121, vcc, s16, v168
	s_mov_b32 s16, 0x9b97f4a8
	s_mov_b32 s17, 0x3fe9e377
	;; [unrolled: 1-line block ×3, first 2 shown]
	s_waitcnt vmcnt(1)
	buffer_store_dword v28, off, s[36:39], 0 offset:168 ; 4-byte Folded Spill
	s_nop 0
	buffer_store_dword v29, off, s[36:39], 0 offset:172 ; 4-byte Folded Spill
	buffer_store_dword v30, off, s[36:39], 0 offset:176 ; 4-byte Folded Spill
	buffer_store_dword v31, off, s[36:39], 0 offset:180 ; 4-byte Folded Spill
	s_waitcnt vmcnt(4)
	v_mul_f64 v[18:19], v[16:17], v[30:31]
	v_fma_f64 v[18:19], v[14:15], v[28:29], v[18:19]
	v_mul_f64 v[14:15], v[14:15], v[30:31]
	v_fma_f64 v[20:21], v[16:17], v[28:29], -v[14:15]
	v_mov_b32_e32 v14, 0xffff5d80
	v_mad_u64_u32 v[26:27], s[6:7], s4, v14, v[26:27]
	s_movk_i32 s6, 0x190
	v_add_co_u32_e32 v129, vcc, s6, v168
	v_add_u32_e32 v27, s5, v27
	ds_write_b128 v120, v[18:21] offset:43200
	global_load_dwordx4 v[14:17], v[26:27], off
	global_load_dwordx4 v[29:32], v120, s[8:9] offset:1600
	v_add_co_u32_e32 v26, vcc, s3, v26
	s_movk_i32 s6, 0x2bc
	v_mov_b32_e32 v28, 0xffff5d80
	s_waitcnt vmcnt(0)
	buffer_store_dword v29, off, s[36:39], 0 offset:184 ; 4-byte Folded Spill
	s_nop 0
	buffer_store_dword v30, off, s[36:39], 0 offset:188 ; 4-byte Folded Spill
	buffer_store_dword v31, off, s[36:39], 0 offset:192 ; 4-byte Folded Spill
	;; [unrolled: 1-line block ×3, first 2 shown]
	v_mul_f64 v[18:19], v[16:17], v[31:32]
	v_fma_f64 v[18:19], v[14:15], v[29:30], v[18:19]
	v_mul_f64 v[14:15], v[14:15], v[31:32]
	v_fma_f64 v[20:21], v[16:17], v[29:30], -v[14:15]
	v_mov_b32_e32 v14, s2
	v_addc_co_u32_e32 v27, vcc, v27, v14, vcc
	v_add_co_u32_e32 v137, vcc, s6, v168
	s_movk_i32 s6, 0x6000
	ds_write_b128 v120, v[18:21] offset:1600
	global_load_dwordx4 v[14:17], v[26:27], off
	global_load_dwordx4 v[29:32], v[12:13], off offset:2304
	v_add_co_u32_e32 v26, vcc, s3, v26
	s_waitcnt vmcnt(0)
	buffer_store_dword v29, off, s[36:39], 0 offset:200 ; 4-byte Folded Spill
	s_nop 0
	buffer_store_dword v30, off, s[36:39], 0 offset:204 ; 4-byte Folded Spill
	buffer_store_dword v31, off, s[36:39], 0 offset:208 ; 4-byte Folded Spill
	buffer_store_dword v32, off, s[36:39], 0 offset:212 ; 4-byte Folded Spill
	v_mul_f64 v[18:19], v[16:17], v[31:32]
	v_fma_f64 v[18:19], v[14:15], v[29:30], v[18:19]
	v_mul_f64 v[14:15], v[14:15], v[31:32]
	v_fma_f64 v[20:21], v[16:17], v[29:30], -v[14:15]
	v_mov_b32_e32 v14, s2
	v_addc_co_u32_e32 v27, vcc, v27, v14, vcc
	ds_write_b128 v120, v[18:21] offset:6400
	global_load_dwordx4 v[14:17], v[26:27], off
	global_load_dwordx4 v[29:32], v[22:23], off offset:3008
	v_add_co_u32_e32 v22, vcc, s3, v26
	s_waitcnt vmcnt(0)
	buffer_store_dword v29, off, s[36:39], 0 offset:248 ; 4-byte Folded Spill
	s_nop 0
	buffer_store_dword v30, off, s[36:39], 0 offset:252 ; 4-byte Folded Spill
	buffer_store_dword v31, off, s[36:39], 0 offset:256 ; 4-byte Folded Spill
	buffer_store_dword v32, off, s[36:39], 0 offset:260 ; 4-byte Folded Spill
	v_mul_f64 v[18:19], v[16:17], v[31:32]
	v_fma_f64 v[18:19], v[14:15], v[29:30], v[18:19]
	v_mul_f64 v[14:15], v[14:15], v[31:32]
	v_fma_f64 v[20:21], v[16:17], v[29:30], -v[14:15]
	v_mov_b32_e32 v14, s2
	v_addc_co_u32_e32 v23, vcc, v27, v14, vcc
	;; [unrolled: 16-line block ×4, first 2 shown]
	v_add_co_u32_e32 v26, vcc, s6, v148
	v_addc_co_u32_e32 v27, vcc, 0, v153, vcc
	global_load_dwordx4 v[29:32], v[26:27], off offset:1024
	global_load_dwordx4 v[14:17], v[22:23], off
	ds_write_b128 v120, v[18:21] offset:20800
	v_add_co_u32_e32 v22, vcc, s3, v22
	s_movk_i32 s6, 0xc8
	s_waitcnt vmcnt(1)
	buffer_store_dword v29, off, s[36:39], 0 offset:328 ; 4-byte Folded Spill
	s_nop 0
	buffer_store_dword v30, off, s[36:39], 0 offset:332 ; 4-byte Folded Spill
	buffer_store_dword v31, off, s[36:39], 0 offset:336 ; 4-byte Folded Spill
	;; [unrolled: 1-line block ×3, first 2 shown]
	s_waitcnt vmcnt(4)
	v_mul_f64 v[18:19], v[16:17], v[31:32]
	v_fma_f64 v[18:19], v[14:15], v[29:30], v[18:19]
	v_mul_f64 v[14:15], v[14:15], v[31:32]
	v_fma_f64 v[20:21], v[16:17], v[29:30], -v[14:15]
	v_mov_b32_e32 v14, s2
	v_addc_co_u32_e32 v23, vcc, v23, v14, vcc
	ds_write_b128 v120, v[18:21] offset:25600
	global_load_dwordx4 v[14:17], v[22:23], off
	global_load_dwordx4 v[29:32], v[8:9], off offset:1728
	v_add_co_u32_e32 v22, vcc, s3, v22
	s_waitcnt vmcnt(0)
	buffer_store_dword v29, off, s[36:39], 0 offset:312 ; 4-byte Folded Spill
	s_nop 0
	buffer_store_dword v30, off, s[36:39], 0 offset:316 ; 4-byte Folded Spill
	buffer_store_dword v31, off, s[36:39], 0 offset:320 ; 4-byte Folded Spill
	buffer_store_dword v32, off, s[36:39], 0 offset:324 ; 4-byte Folded Spill
	v_mul_f64 v[18:19], v[16:17], v[31:32]
	v_fma_f64 v[18:19], v[14:15], v[29:30], v[18:19]
	v_mul_f64 v[14:15], v[14:15], v[31:32]
	v_fma_f64 v[20:21], v[16:17], v[29:30], -v[14:15]
	v_mov_b32_e32 v14, s2
	v_addc_co_u32_e32 v23, vcc, v23, v14, vcc
	ds_write_b128 v120, v[18:21] offset:30400
	global_load_dwordx4 v[14:17], v[22:23], off
	global_load_dwordx4 v[29:32], v[10:11], off offset:2432
	v_add_co_u32_e32 v22, vcc, s3, v22
	s_waitcnt vmcnt(0)
	buffer_store_dword v29, off, s[36:39], 0 offset:296 ; 4-byte Folded Spill
	s_nop 0
	buffer_store_dword v30, off, s[36:39], 0 offset:300 ; 4-byte Folded Spill
	buffer_store_dword v31, off, s[36:39], 0 offset:304 ; 4-byte Folded Spill
	buffer_store_dword v32, off, s[36:39], 0 offset:308 ; 4-byte Folded Spill
	v_mul_f64 v[18:19], v[16:17], v[31:32]
	v_fma_f64 v[18:19], v[14:15], v[29:30], v[18:19]
	v_mul_f64 v[14:15], v[14:15], v[31:32]
	v_fma_f64 v[20:21], v[16:17], v[29:30], -v[14:15]
	v_mov_b32_e32 v14, s2
	v_addc_co_u32_e32 v23, vcc, v23, v14, vcc
	ds_write_b128 v120, v[18:21] offset:35200
	global_load_dwordx4 v[14:17], v[22:23], off
	global_load_dwordx4 v[29:32], v[24:25], off offset:3136
	v_add_co_u32_e32 v22, vcc, s3, v22
	s_waitcnt vmcnt(0)
	buffer_store_dword v29, off, s[36:39], 0 offset:280 ; 4-byte Folded Spill
	s_nop 0
	buffer_store_dword v30, off, s[36:39], 0 offset:284 ; 4-byte Folded Spill
	buffer_store_dword v31, off, s[36:39], 0 offset:288 ; 4-byte Folded Spill
	buffer_store_dword v32, off, s[36:39], 0 offset:292 ; 4-byte Folded Spill
	v_mul_f64 v[18:19], v[16:17], v[31:32]
	v_fma_f64 v[18:19], v[14:15], v[29:30], v[18:19]
	v_mul_f64 v[14:15], v[14:15], v[31:32]
	v_fma_f64 v[20:21], v[16:17], v[29:30], -v[14:15]
	v_mov_b32_e32 v14, s2
	v_addc_co_u32_e32 v23, vcc, v23, v14, vcc
	v_add_co_u32_e32 v150, vcc, s6, v168
	ds_write_b128 v120, v[18:21] offset:40000
	global_load_dwordx4 v[14:17], v[22:23], off
	global_load_dwordx4 v[29:32], v[0:1], off offset:3840
	v_mad_u64_u32 v[22:23], s[6:7], s4, v28, v[22:23]
	s_movk_i32 s4, 0x1f4
	v_add_co_u32_e32 v131, vcc, s4, v168
	v_add_u32_e32 v23, s5, v23
	s_movk_i32 s4, 0x320
	s_mov_b32 s6, 0x372fe950
	s_mov_b32 s7, 0x3fd3c6ef
	;; [unrolled: 1-line block ×3, first 2 shown]
	s_waitcnt vmcnt(0)
	buffer_store_dword v29, off, s[36:39], 0 offset:264 ; 4-byte Folded Spill
	s_nop 0
	buffer_store_dword v30, off, s[36:39], 0 offset:268 ; 4-byte Folded Spill
	buffer_store_dword v31, off, s[36:39], 0 offset:272 ; 4-byte Folded Spill
	;; [unrolled: 1-line block ×3, first 2 shown]
	v_mul_f64 v[18:19], v[16:17], v[31:32]
	v_fma_f64 v[18:19], v[14:15], v[29:30], v[18:19]
	v_mul_f64 v[14:15], v[14:15], v[31:32]
	v_fma_f64 v[20:21], v[16:17], v[29:30], -v[14:15]
	ds_write_b128 v120, v[18:21] offset:44800
	global_load_dwordx4 v[14:17], v[22:23], off
	global_load_dwordx4 v[28:31], v120, s[8:9] offset:3200
	s_mov_b32 s9, 0xbfee6f0e
	s_waitcnt vmcnt(0)
	buffer_store_dword v28, off, s[36:39], 0 offset:232 ; 4-byte Folded Spill
	s_nop 0
	buffer_store_dword v29, off, s[36:39], 0 offset:236 ; 4-byte Folded Spill
	buffer_store_dword v30, off, s[36:39], 0 offset:240 ; 4-byte Folded Spill
	;; [unrolled: 1-line block ×3, first 2 shown]
	v_mul_f64 v[18:19], v[16:17], v[30:31]
	v_fma_f64 v[18:19], v[14:15], v[28:29], v[18:19]
	v_mul_f64 v[14:15], v[14:15], v[30:31]
	v_fma_f64 v[20:21], v[16:17], v[28:29], -v[14:15]
	v_mov_b32_e32 v14, s2
	ds_write_b128 v120, v[18:21] offset:3200
	v_add_co_u32_e32 v18, vcc, s3, v22
	v_addc_co_u32_e32 v19, vcc, v23, v14, vcc
	global_load_dwordx4 v[14:17], v[18:19], off
	global_load_dwordx4 v[20:23], v[12:13], off offset:3904
	v_add_co_u32_e32 v138, vcc, s4, v168
	s_mov_b32 s4, 0x4755a5e
	s_mov_b32 s5, 0x3fe2cf23
	;; [unrolled: 1-line block ×3, first 2 shown]
	s_waitcnt vmcnt(0)
	buffer_store_dword v20, off, s[36:39], 0 offset:216 ; 4-byte Folded Spill
	s_nop 0
	buffer_store_dword v21, off, s[36:39], 0 offset:220 ; 4-byte Folded Spill
	buffer_store_dword v22, off, s[36:39], 0 offset:224 ; 4-byte Folded Spill
	;; [unrolled: 1-line block ×3, first 2 shown]
	v_mul_f64 v[12:13], v[16:17], v[22:23]
	v_fma_f64 v[12:13], v[14:15], v[20:21], v[12:13]
	v_mul_f64 v[14:15], v[14:15], v[22:23]
	v_fma_f64 v[14:15], v[16:17], v[20:21], -v[14:15]
	v_add_co_u32_e32 v20, vcc, s3, v18
	ds_write_b128 v120, v[12:15] offset:8000
	v_mov_b32_e32 v12, s2
	v_addc_co_u32_e32 v21, vcc, v19, v12, vcc
	global_load_dwordx4 v[12:15], v[20:21], off
	global_load_dwordx4 v[22:25], v[2:3], off offset:512
	s_waitcnt vmcnt(0)
	buffer_store_dword v22, off, s[36:39], 0 offset:424 ; 4-byte Folded Spill
	s_nop 0
	buffer_store_dword v23, off, s[36:39], 0 offset:428 ; 4-byte Folded Spill
	buffer_store_dword v24, off, s[36:39], 0 offset:432 ; 4-byte Folded Spill
	;; [unrolled: 1-line block ×3, first 2 shown]
	v_mul_f64 v[2:3], v[14:15], v[24:25]
	v_fma_f64 v[16:17], v[12:13], v[22:23], v[2:3]
	v_mul_f64 v[2:3], v[12:13], v[24:25]
	v_fma_f64 v[18:19], v[14:15], v[22:23], -v[2:3]
	v_mov_b32_e32 v2, s2
	ds_write_b128 v120, v[16:19] offset:12800
	v_add_co_u32_e32 v16, vcc, s3, v20
	v_addc_co_u32_e32 v17, vcc, v21, v2, vcc
	global_load_dwordx4 v[12:15], v[16:17], off
	global_load_dwordx4 v[18:21], v[4:5], off offset:1216
	v_add_co_u32_e32 v16, vcc, s3, v16
	s_waitcnt vmcnt(0)
	buffer_store_dword v18, off, s[36:39], 0 offset:456 ; 4-byte Folded Spill
	s_nop 0
	buffer_store_dword v19, off, s[36:39], 0 offset:460 ; 4-byte Folded Spill
	buffer_store_dword v20, off, s[36:39], 0 offset:464 ; 4-byte Folded Spill
	;; [unrolled: 1-line block ×3, first 2 shown]
	v_mul_f64 v[2:3], v[14:15], v[20:21]
	v_mul_f64 v[4:5], v[12:13], v[20:21]
	v_fma_f64 v[2:3], v[12:13], v[18:19], v[2:3]
	v_fma_f64 v[4:5], v[14:15], v[18:19], -v[4:5]
	ds_write_b128 v120, v[2:5] offset:17600
	v_mov_b32_e32 v2, s2
	v_addc_co_u32_e32 v17, vcc, v17, v2, vcc
	global_load_dwordx4 v[2:5], v[16:17], off
	global_load_dwordx4 v[18:21], v[6:7], off offset:1920
	s_waitcnt vmcnt(0)
	buffer_store_dword v18, off, s[36:39], 0 offset:440 ; 4-byte Folded Spill
	s_nop 0
	buffer_store_dword v19, off, s[36:39], 0 offset:444 ; 4-byte Folded Spill
	buffer_store_dword v20, off, s[36:39], 0 offset:448 ; 4-byte Folded Spill
	;; [unrolled: 1-line block ×3, first 2 shown]
	v_mul_f64 v[6:7], v[4:5], v[20:21]
	v_fma_f64 v[12:13], v[2:3], v[18:19], v[6:7]
	v_mul_f64 v[2:3], v[2:3], v[20:21]
	v_add_co_u32_e32 v6, vcc, s3, v16
	v_fma_f64 v[14:15], v[4:5], v[18:19], -v[2:3]
	v_mov_b32_e32 v2, s2
	v_addc_co_u32_e32 v7, vcc, v17, v2, vcc
	ds_write_b128 v120, v[12:15] offset:22400
	global_load_dwordx4 v[2:5], v[6:7], off
	global_load_dwordx4 v[14:17], v[26:27], off offset:2624
	s_waitcnt vmcnt(0)
	buffer_store_dword v14, off, s[36:39], 0 offset:408 ; 4-byte Folded Spill
	s_nop 0
	buffer_store_dword v15, off, s[36:39], 0 offset:412 ; 4-byte Folded Spill
	buffer_store_dword v16, off, s[36:39], 0 offset:416 ; 4-byte Folded Spill
	;; [unrolled: 1-line block ×3, first 2 shown]
	v_mul_f64 v[12:13], v[4:5], v[16:17]
	v_fma_f64 v[12:13], v[2:3], v[14:15], v[12:13]
	v_mul_f64 v[2:3], v[2:3], v[16:17]
	v_fma_f64 v[14:15], v[4:5], v[14:15], -v[2:3]
	v_mov_b32_e32 v2, s2
	ds_write_b128 v120, v[12:15] offset:27200
	v_add_co_u32_e32 v12, vcc, s3, v6
	v_addc_co_u32_e32 v13, vcc, v7, v2, vcc
	global_load_dwordx4 v[2:5], v[12:13], off
	global_load_dwordx4 v[14:17], v[8:9], off offset:3328
	s_waitcnt vmcnt(0)
	buffer_store_dword v14, off, s[36:39], 0 offset:392 ; 4-byte Folded Spill
	s_nop 0
	buffer_store_dword v15, off, s[36:39], 0 offset:396 ; 4-byte Folded Spill
	buffer_store_dword v16, off, s[36:39], 0 offset:400 ; 4-byte Folded Spill
	buffer_store_dword v17, off, s[36:39], 0 offset:404 ; 4-byte Folded Spill
	v_add_co_u32_e32 v12, vcc, s3, v12
	v_mul_f64 v[6:7], v[4:5], v[16:17]
	v_fma_f64 v[6:7], v[2:3], v[14:15], v[6:7]
	v_mul_f64 v[2:3], v[2:3], v[16:17]
	v_fma_f64 v[8:9], v[4:5], v[14:15], -v[2:3]
	v_mov_b32_e32 v2, s2
	v_addc_co_u32_e32 v13, vcc, v13, v2, vcc
	ds_write_b128 v120, v[6:9] offset:32000
	global_load_dwordx4 v[2:5], v[12:13], off
	s_nop 0
	global_load_dwordx4 v[8:11], v[10:11], off offset:4032
	s_waitcnt vmcnt(0)
	buffer_store_dword v8, off, s[36:39], 0 offset:376 ; 4-byte Folded Spill
	s_nop 0
	buffer_store_dword v9, off, s[36:39], 0 offset:380 ; 4-byte Folded Spill
	buffer_store_dword v10, off, s[36:39], 0 offset:384 ; 4-byte Folded Spill
	;; [unrolled: 1-line block ×3, first 2 shown]
	v_mul_f64 v[6:7], v[4:5], v[10:11]
	v_fma_f64 v[6:7], v[2:3], v[8:9], v[6:7]
	v_mul_f64 v[2:3], v[2:3], v[10:11]
	v_fma_f64 v[8:9], v[4:5], v[8:9], -v[2:3]
	v_mov_b32_e32 v2, s2
	ds_write_b128 v120, v[6:9] offset:36800
	v_add_co_u32_e32 v6, vcc, s3, v12
	v_addc_co_u32_e32 v7, vcc, v13, v2, vcc
	global_load_dwordx4 v[2:5], v[6:7], off
	global_load_dwordx4 v[8:11], v[0:1], off offset:640
	s_waitcnt vmcnt(0)
	buffer_store_dword v8, off, s[36:39], 0 offset:472 ; 4-byte Folded Spill
	s_nop 0
	buffer_store_dword v9, off, s[36:39], 0 offset:476 ; 4-byte Folded Spill
	buffer_store_dword v10, off, s[36:39], 0 offset:480 ; 4-byte Folded Spill
	;; [unrolled: 1-line block ×3, first 2 shown]
	v_mul_f64 v[0:1], v[4:5], v[10:11]
	v_fma_f64 v[0:1], v[2:3], v[8:9], v[0:1]
	v_mul_f64 v[2:3], v[2:3], v[10:11]
	v_fma_f64 v[2:3], v[4:5], v[8:9], -v[2:3]
	ds_write_b128 v120, v[0:3] offset:41600
	v_add_co_u32_e32 v0, vcc, s3, v6
	v_mov_b32_e32 v1, s2
	v_addc_co_u32_e32 v1, vcc, v7, v1, vcc
	s_mov_b32 s2, 0xb000
	v_add_co_u32_e32 v4, vcc, s2, v148
	v_addc_co_u32_e32 v5, vcc, 0, v153, vcc
	global_load_dwordx4 v[0:3], v[0:1], off
	s_nop 0
	buffer_store_dword v4, off, s[36:39], 0 offset:1396 ; 4-byte Folded Spill
	s_nop 0
	buffer_store_dword v5, off, s[36:39], 0 offset:1400 ; 4-byte Folded Spill
	s_mov_b32 s2, 0x134454ff
	s_mov_b32 s3, 0x3fee6f0e
	;; [unrolled: 1-line block ×3, first 2 shown]
	global_load_dwordx4 v[4:7], v[4:5], off offset:1344
	s_waitcnt vmcnt(0)
	v_mov_b32_e32 v9, v7
	v_mov_b32_e32 v8, v6
	;; [unrolled: 1-line block ×4, first 2 shown]
	v_mul_f64 v[4:5], v[2:3], v[8:9]
	v_fma_f64 v[4:5], v[0:1], v[6:7], v[4:5]
	v_mul_f64 v[0:1], v[0:1], v[8:9]
	buffer_store_dword v6, off, s[36:39], 0 ; 4-byte Folded Spill
	s_nop 0
	buffer_store_dword v7, off, s[36:39], 0 offset:4 ; 4-byte Folded Spill
	buffer_store_dword v8, off, s[36:39], 0 offset:8 ; 4-byte Folded Spill
	;; [unrolled: 1-line block ×3, first 2 shown]
	v_fma_f64 v[6:7], v[2:3], v[6:7], -v[0:1]
	ds_write_b128 v120, v[4:7] offset:46400
	s_waitcnt vmcnt(0) lgkmcnt(0)
	s_barrier
	ds_read_b128 v[64:67], v120
	ds_read_b128 v[48:51], v120 offset:4800
	ds_read_b128 v[60:63], v120 offset:9600
	;; [unrolled: 1-line block ×29, first 2 shown]
	s_waitcnt lgkmcnt(14)
	v_add_f64 v[74:75], v[68:69], v[122:123]
	v_add_f64 v[126:127], v[62:63], -v[134:135]
	v_add_f64 v[139:140], v[70:71], -v[124:125]
	;; [unrolled: 1-line block ×4, first 2 shown]
	v_add_f64 v[72:73], v[64:65], v[60:61]
	v_add_f64 v[143:144], v[122:123], -v[132:133]
	s_waitcnt lgkmcnt(0)
	v_fma_f64 v[76:77], v[74:75], -0.5, v[64:65]
	s_barrier
	v_add_f64 v[78:79], v[78:79], v[141:142]
	v_add_f64 v[141:142], v[68:69], -v[60:61]
	v_add_f64 v[72:73], v[72:73], v[68:69]
	v_add_f64 v[68:69], v[68:69], -v[122:123]
	v_fma_f64 v[74:75], v[126:127], s[2:3], v[76:77]
	v_fma_f64 v[76:77], v[126:127], s[8:9], v[76:77]
	v_add_f64 v[141:142], v[141:142], v[143:144]
	v_add_f64 v[72:73], v[72:73], v[122:123]
	v_fma_f64 v[74:75], v[139:140], s[4:5], v[74:75]
	v_fma_f64 v[76:77], v[139:140], s[14:15], v[76:77]
	v_add_f64 v[72:73], v[72:73], v[132:133]
	v_fma_f64 v[74:75], v[78:79], s[6:7], v[74:75]
	v_fma_f64 v[78:79], v[78:79], s[6:7], v[76:77]
	v_add_f64 v[76:77], v[60:61], v[132:133]
	v_add_f64 v[60:61], v[60:61], -v[132:133]
	v_fma_f64 v[64:65], v[76:77], -0.5, v[64:65]
	v_fma_f64 v[76:77], v[139:140], s[8:9], v[64:65]
	v_fma_f64 v[64:65], v[139:140], s[2:3], v[64:65]
	v_add_f64 v[139:140], v[134:135], -v[124:125]
	v_fma_f64 v[76:77], v[126:127], s[4:5], v[76:77]
	v_fma_f64 v[64:65], v[126:127], s[14:15], v[64:65]
	;; [unrolled: 1-line block ×3, first 2 shown]
	v_add_f64 v[76:77], v[66:67], v[62:63]
	v_fma_f64 v[64:65], v[141:142], s[6:7], v[64:65]
	v_add_f64 v[141:142], v[52:53], -v[56:57]
	v_add_f64 v[76:77], v[76:77], v[70:71]
	v_add_f64 v[76:77], v[76:77], v[124:125]
	;; [unrolled: 1-line block ×4, first 2 shown]
	v_fma_f64 v[76:77], v[76:77], -0.5, v[66:67]
	v_fma_f64 v[132:133], v[60:61], s[8:9], v[76:77]
	v_fma_f64 v[76:77], v[60:61], s[2:3], v[76:77]
	;; [unrolled: 1-line block ×3, first 2 shown]
	v_add_f64 v[132:133], v[62:63], -v[70:71]
	v_fma_f64 v[76:77], v[68:69], s[4:5], v[76:77]
	v_add_f64 v[132:133], v[132:133], v[139:140]
	v_add_f64 v[139:140], v[56:57], -v[52:53]
	v_fma_f64 v[122:123], v[132:133], s[6:7], v[122:123]
	v_fma_f64 v[132:133], v[132:133], s[6:7], v[76:77]
	v_add_f64 v[76:77], v[62:63], v[134:135]
	v_add_f64 v[62:63], v[70:71], -v[62:63]
	v_add_f64 v[70:71], v[124:125], -v[134:135]
	;; [unrolled: 1-line block ×4, first 2 shown]
	v_fma_f64 v[66:67], v[76:77], -0.5, v[66:67]
	v_add_f64 v[62:63], v[62:63], v[70:71]
	v_add_f64 v[134:135], v[134:135], v[139:140]
	v_add_f64 v[139:140], v[44:45], -v[40:41]
	v_fma_f64 v[76:77], v[68:69], s[2:3], v[66:67]
	v_fma_f64 v[66:67], v[68:69], s[8:9], v[66:67]
	v_add_f64 v[68:69], v[42:43], -v[58:59]
	v_add_f64 v[139:140], v[139:140], v[141:142]
	v_fma_f64 v[76:77], v[60:61], s[14:15], v[76:77]
	v_fma_f64 v[60:61], v[60:61], s[4:5], v[66:67]
	v_add_f64 v[66:67], v[44:45], v[52:53]
	v_fma_f64 v[70:71], v[62:63], s[6:7], v[76:77]
	v_fma_f64 v[62:63], v[62:63], s[6:7], v[60:61]
	v_fma_f64 v[66:67], v[66:67], -0.5, v[48:49]
	v_add_f64 v[60:61], v[48:49], v[40:41]
	v_fma_f64 v[76:77], v[68:69], s[2:3], v[66:67]
	v_fma_f64 v[66:67], v[68:69], s[8:9], v[66:67]
	v_add_f64 v[60:61], v[60:61], v[44:45]
	v_add_f64 v[44:45], v[44:45], -v[52:53]
	v_fma_f64 v[76:77], v[124:125], s[4:5], v[76:77]
	v_fma_f64 v[66:67], v[124:125], s[14:15], v[66:67]
	v_add_f64 v[60:61], v[60:61], v[52:53]
	v_fma_f64 v[76:77], v[134:135], s[6:7], v[76:77]
	v_fma_f64 v[66:67], v[134:135], s[6:7], v[66:67]
	v_add_f64 v[134:135], v[40:41], v[56:57]
	v_add_f64 v[40:41], v[40:41], -v[56:57]
	v_add_f64 v[60:61], v[60:61], v[56:57]
	v_fma_f64 v[48:49], v[134:135], -0.5, v[48:49]
	v_fma_f64 v[134:135], v[124:125], s[8:9], v[48:49]
	v_fma_f64 v[48:49], v[124:125], s[2:3], v[48:49]
	;; [unrolled: 1-line block ×6, first 2 shown]
	v_add_f64 v[48:49], v[50:51], v[42:43]
	v_add_f64 v[139:140], v[58:59], -v[54:55]
	v_add_f64 v[48:49], v[48:49], v[46:47]
	v_add_f64 v[48:49], v[48:49], v[54:55]
	;; [unrolled: 1-line block ×4, first 2 shown]
	v_fma_f64 v[48:49], v[48:49], -0.5, v[50:51]
	v_fma_f64 v[56:57], v[40:41], s[8:9], v[48:49]
	v_fma_f64 v[48:49], v[40:41], s[2:3], v[48:49]
	;; [unrolled: 1-line block ×3, first 2 shown]
	v_add_f64 v[56:57], v[42:43], -v[46:47]
	v_fma_f64 v[48:49], v[44:45], s[4:5], v[48:49]
	v_add_f64 v[56:57], v[56:57], v[139:140]
	v_fma_f64 v[141:142], v[56:57], s[6:7], v[48:49]
	v_add_f64 v[48:49], v[42:43], v[58:59]
	v_add_f64 v[42:43], v[46:47], -v[42:43]
	v_add_f64 v[46:47], v[54:55], -v[58:59]
	v_fma_f64 v[139:140], v[56:57], s[6:7], v[52:53]
	v_mul_f64 v[58:59], v[134:135], s[8:9]
	v_fma_f64 v[48:49], v[48:49], -0.5, v[50:51]
	v_add_f64 v[42:43], v[42:43], v[46:47]
	v_mul_f64 v[46:47], v[76:77], s[14:15]
	v_fma_f64 v[50:51], v[44:45], s[2:3], v[48:49]
	v_fma_f64 v[44:45], v[44:45], s[8:9], v[48:49]
	;; [unrolled: 1-line block ×6, first 2 shown]
	v_mul_f64 v[42:43], v[76:77], s[16:17]
	v_add_f64 v[40:41], v[72:73], v[60:61]
	v_add_f64 v[76:77], v[72:73], -v[60:61]
	v_fma_f64 v[145:146], v[139:140], s[4:5], v[42:43]
	v_mul_f64 v[42:43], v[50:51], s[2:3]
	v_fma_f64 v[139:140], v[139:140], s[16:17], v[46:47]
	v_add_f64 v[44:45], v[74:75], v[145:146]
	v_fma_f64 v[151:152], v[134:135], s[6:7], v[42:43]
	v_mul_f64 v[42:43], v[68:69], s[18:19]
	v_add_f64 v[46:47], v[122:123], v[139:140]
	v_add_f64 v[72:73], v[74:75], -v[145:146]
	v_add_f64 v[74:75], v[122:123], -v[139:140]
	v_add_f64 v[122:123], v[116:117], v[108:109]
	v_fma_f64 v[134:135], v[50:51], s[6:7], v[58:59]
	v_mul_f64 v[58:59], v[141:142], s[20:21]
	v_add_f64 v[139:140], v[108:109], -v[112:113]
	v_fma_f64 v[154:155], v[54:55], s[2:3], v[42:43]
	v_mul_f64 v[42:43], v[66:67], s[20:21]
	v_mul_f64 v[54:55], v[54:55], s[18:19]
	v_add_f64 v[48:49], v[143:144], v[151:152]
	v_add_f64 v[122:123], v[122:123], v[112:113]
	;; [unrolled: 1-line block ×3, first 2 shown]
	v_add_f64 v[70:71], v[70:71], -v[134:135]
	v_add_f64 v[134:135], v[114:115], -v[102:103]
	v_add_f64 v[52:53], v[64:65], v[154:155]
	v_fma_f64 v[156:157], v[141:142], s[4:5], v[42:43]
	v_add_f64 v[42:43], v[126:127], v[124:125]
	v_fma_f64 v[158:159], v[68:69], s[8:9], v[54:55]
	;; [unrolled: 2-line block ×3, first 2 shown]
	v_add_f64 v[68:69], v[143:144], -v[151:152]
	v_add_f64 v[143:144], v[100:101], -v[104:105]
	;; [unrolled: 1-line block ×3, first 2 shown]
	v_add_f64 v[56:57], v[78:79], v[156:157]
	v_add_f64 v[60:61], v[78:79], -v[156:157]
	v_add_f64 v[78:79], v[126:127], -v[124:125]
	v_add_f64 v[126:127], v[122:123], v[104:105]
	v_add_f64 v[122:123], v[112:113], v[100:101]
	;; [unrolled: 1-line block ×4, first 2 shown]
	v_add_f64 v[66:67], v[62:63], -v[158:159]
	v_add_f64 v[62:63], v[132:133], -v[141:142]
	;; [unrolled: 1-line block ×5, first 2 shown]
	v_fma_f64 v[124:125], v[122:123], -0.5, v[116:117]
	v_add_f64 v[139:140], v[139:140], v[141:142]
	v_add_f64 v[141:142], v[112:113], -v[108:109]
	v_fma_f64 v[122:123], v[132:133], s[2:3], v[124:125]
	v_fma_f64 v[124:125], v[132:133], s[8:9], v[124:125]
	v_add_f64 v[112:113], v[110:111], -v[114:115]
	v_add_f64 v[141:142], v[141:142], v[143:144]
	v_fma_f64 v[122:123], v[134:135], s[4:5], v[122:123]
	v_fma_f64 v[124:125], v[134:135], s[14:15], v[124:125]
	;; [unrolled: 1-line block ×4, first 2 shown]
	v_add_f64 v[139:140], v[108:109], v[104:105]
	v_add_f64 v[104:105], v[108:109], -v[104:105]
	v_fma_f64 v[116:117], v[139:140], -0.5, v[116:117]
	v_fma_f64 v[139:140], v[134:135], s[8:9], v[116:117]
	v_fma_f64 v[116:117], v[134:135], s[2:3], v[116:117]
	;; [unrolled: 1-line block ×6, first 2 shown]
	v_add_f64 v[116:117], v[118:119], v[110:111]
	v_add_f64 v[141:142], v[106:107], -v[102:103]
	v_add_f64 v[116:117], v[116:117], v[114:115]
	v_add_f64 v[112:113], v[112:113], v[141:142]
	;; [unrolled: 1-line block ×5, first 2 shown]
	v_add_f64 v[102:103], v[102:103], -v[106:107]
	v_fma_f64 v[116:117], v[116:117], -0.5, v[118:119]
	v_fma_f64 v[108:109], v[104:105], s[8:9], v[116:117]
	v_fma_f64 v[108:109], v[100:101], s[14:15], v[108:109]
	;; [unrolled: 1-line block ×4, first 2 shown]
	v_add_f64 v[116:117], v[84:85], -v[80:81]
	v_fma_f64 v[108:109], v[100:101], s[4:5], v[108:109]
	v_fma_f64 v[143:144], v[112:113], s[6:7], v[108:109]
	v_add_f64 v[108:109], v[110:111], v[106:107]
	v_add_f64 v[110:111], v[114:115], -v[110:111]
	v_add_f64 v[114:115], v[88:89], -v[92:93]
	v_fma_f64 v[108:109], v[108:109], -0.5, v[118:119]
	v_add_f64 v[102:103], v[110:111], v[102:103]
	v_add_f64 v[114:115], v[114:115], v[116:117]
	v_add_f64 v[116:117], v[92:93], -v[88:89]
	v_add_f64 v[118:119], v[80:81], -v[84:85]
	v_fma_f64 v[112:113], v[100:101], s[2:3], v[108:109]
	v_fma_f64 v[100:101], v[100:101], s[8:9], v[108:109]
	v_add_f64 v[108:109], v[90:91], -v[86:87]
	v_add_f64 v[116:117], v[116:117], v[118:119]
	v_fma_f64 v[112:113], v[104:105], s[14:15], v[112:113]
	v_fma_f64 v[100:101], v[104:105], s[4:5], v[100:101]
	v_add_f64 v[104:105], v[92:93], v[80:81]
	v_fma_f64 v[106:107], v[102:103], s[6:7], v[112:113]
	v_add_f64 v[112:113], v[94:95], -v[82:83]
	v_fma_f64 v[104:105], v[104:105], -0.5, v[96:97]
	v_fma_f64 v[102:103], v[102:103], s[6:7], v[100:101]
	v_add_f64 v[100:101], v[96:97], v[88:89]
	v_fma_f64 v[110:111], v[108:109], s[2:3], v[104:105]
	v_fma_f64 v[104:105], v[108:109], s[8:9], v[104:105]
	v_add_f64 v[100:101], v[100:101], v[92:93]
	v_fma_f64 v[110:111], v[112:113], s[4:5], v[110:111]
	v_fma_f64 v[104:105], v[112:113], s[14:15], v[104:105]
	v_add_f64 v[100:101], v[100:101], v[80:81]
	v_add_f64 v[80:81], v[92:93], -v[80:81]
	v_add_f64 v[92:93], v[90:91], -v[94:95]
	v_fma_f64 v[110:111], v[114:115], s[6:7], v[110:111]
	v_fma_f64 v[104:105], v[114:115], s[6:7], v[104:105]
	v_add_f64 v[114:115], v[88:89], v[84:85]
	v_add_f64 v[100:101], v[100:101], v[84:85]
	v_add_f64 v[84:85], v[88:89], -v[84:85]
	v_fma_f64 v[96:97], v[114:115], -0.5, v[96:97]
	v_fma_f64 v[114:115], v[112:113], s[8:9], v[96:97]
	v_fma_f64 v[96:97], v[112:113], s[2:3], v[96:97]
	v_add_f64 v[112:113], v[86:87], -v[82:83]
	v_fma_f64 v[114:115], v[108:109], s[4:5], v[114:115]
	v_fma_f64 v[96:97], v[108:109], s[14:15], v[96:97]
	v_add_f64 v[92:93], v[92:93], v[112:113]
	v_fma_f64 v[114:115], v[116:117], s[6:7], v[114:115]
	v_fma_f64 v[108:109], v[116:117], s[6:7], v[96:97]
	v_add_f64 v[96:97], v[98:99], v[90:91]
	v_add_f64 v[96:97], v[96:97], v[94:95]
	;; [unrolled: 1-line block ×5, first 2 shown]
	v_add_f64 v[82:83], v[82:83], -v[86:87]
	v_fma_f64 v[96:97], v[96:97], -0.5, v[98:99]
	v_fma_f64 v[88:89], v[84:85], s[8:9], v[96:97]
	v_fma_f64 v[88:89], v[80:81], s[14:15], v[88:89]
	;; [unrolled: 1-line block ×6, first 2 shown]
	v_add_f64 v[88:89], v[90:91], v[86:87]
	v_add_f64 v[90:91], v[94:95], -v[90:91]
	v_mul_f64 v[86:87], v[110:111], s[14:15]
	v_fma_f64 v[88:89], v[88:89], -0.5, v[98:99]
	v_add_f64 v[82:83], v[90:91], v[82:83]
	v_mul_f64 v[98:99], v[114:115], s[8:9]
	v_fma_f64 v[92:93], v[80:81], s[2:3], v[88:89]
	v_fma_f64 v[80:81], v[80:81], s[8:9], v[88:89]
	;; [unrolled: 1-line block ×6, first 2 shown]
	v_mul_f64 v[82:83], v[110:111], s[16:17]
	v_add_f64 v[80:81], v[126:127], v[100:101]
	v_fma_f64 v[110:111], v[112:113], s[16:17], v[86:87]
	v_fma_f64 v[158:159], v[90:91], s[6:7], v[98:99]
	;; [unrolled: 1-line block ×3, first 2 shown]
	v_mul_f64 v[82:83], v[90:91], s[2:3]
	v_mul_f64 v[90:91], v[94:95], s[18:19]
	v_add_f64 v[86:87], v[141:142], v[110:111]
	v_add_f64 v[98:99], v[106:107], v[158:159]
	v_add_f64 v[84:85], v[122:123], v[145:146]
	v_fma_f64 v[151:152], v[114:115], s[6:7], v[82:83]
	v_mul_f64 v[82:83], v[108:109], s[18:19]
	v_fma_f64 v[160:161], v[108:109], s[8:9], v[90:91]
	v_mul_f64 v[90:91], v[116:117], s[20:21]
	v_add_f64 v[114:115], v[141:142], -v[110:111]
	v_add_f64 v[141:142], v[24:25], -v[20:21]
	v_add_f64 v[112:113], v[122:123], -v[145:146]
	v_add_f64 v[122:123], v[36:37], v[28:29]
	v_add_f64 v[96:97], v[139:140], v[151:152]
	v_fma_f64 v[154:155], v[94:95], s[2:3], v[82:83]
	v_mul_f64 v[82:83], v[104:105], s[20:21]
	v_fma_f64 v[162:163], v[104:105], s[14:15], v[90:91]
	v_add_f64 v[108:109], v[139:140], -v[151:152]
	v_add_f64 v[139:140], v[28:29], -v[32:33]
	v_add_f64 v[94:95], v[102:103], v[160:161]
	v_add_f64 v[122:123], v[122:123], v[32:33]
	v_add_f64 v[110:111], v[106:107], -v[158:159]
	v_add_f64 v[92:93], v[132:133], v[154:155]
	v_fma_f64 v[156:157], v[116:117], s[4:5], v[82:83]
	v_add_f64 v[116:117], v[126:127], -v[100:101]
	v_add_f64 v[126:127], v[30:31], -v[26:27]
	v_add_f64 v[82:83], v[134:135], v[118:119]
	v_add_f64 v[104:105], v[132:133], -v[154:155]
	v_add_f64 v[118:119], v[134:135], -v[118:119]
	;; [unrolled: 1-line block ×3, first 2 shown]
	v_add_f64 v[139:140], v[139:140], v[141:142]
	v_add_f64 v[88:89], v[124:125], v[156:157]
	v_add_f64 v[100:101], v[124:125], -v[156:157]
	v_add_f64 v[124:125], v[32:33], v[20:21]
	v_add_f64 v[122:123], v[122:123], v[20:21]
	;; [unrolled: 1-line block ×3, first 2 shown]
	v_add_f64 v[106:107], v[102:103], -v[160:161]
	v_add_f64 v[102:103], v[143:144], -v[162:163]
	;; [unrolled: 1-line block ×5, first 2 shown]
	v_fma_f64 v[124:125], v[124:125], -0.5, v[36:37]
	v_add_f64 v[122:123], v[122:123], v[24:25]
	v_add_f64 v[141:142], v[141:142], v[143:144]
	v_add_f64 v[143:144], v[0:1], -v[4:5]
	v_fma_f64 v[132:133], v[126:127], s[2:3], v[124:125]
	v_fma_f64 v[124:125], v[126:127], s[8:9], v[124:125]
	;; [unrolled: 1-line block ×6, first 2 shown]
	v_add_f64 v[139:140], v[28:29], v[24:25]
	v_add_f64 v[24:25], v[28:29], -v[24:25]
	v_fma_f64 v[36:37], v[139:140], -0.5, v[36:37]
	v_fma_f64 v[139:140], v[134:135], s[8:9], v[36:37]
	v_fma_f64 v[36:37], v[134:135], s[2:3], v[36:37]
	v_add_f64 v[134:135], v[34:35], v[22:23]
	v_fma_f64 v[139:140], v[126:127], s[4:5], v[139:140]
	v_fma_f64 v[36:37], v[126:127], s[14:15], v[36:37]
	v_fma_f64 v[134:135], v[134:135], -0.5, v[38:39]
	v_add_f64 v[126:127], v[38:39], v[30:31]
	v_fma_f64 v[139:140], v[141:142], s[6:7], v[139:140]
	v_fma_f64 v[36:37], v[141:142], s[6:7], v[36:37]
	;; [unrolled: 1-line block ×3, first 2 shown]
	v_add_f64 v[141:142], v[26:27], -v[22:23]
	v_add_f64 v[126:127], v[126:127], v[34:35]
	v_fma_f64 v[20:21], v[32:33], s[14:15], v[28:29]
	v_add_f64 v[28:29], v[30:31], -v[34:35]
	v_add_f64 v[126:127], v[126:127], v[22:23]
	v_add_f64 v[22:23], v[22:23], -v[26:27]
	v_add_f64 v[28:29], v[28:29], v[141:142]
	v_add_f64 v[126:127], v[126:127], v[26:27]
	v_fma_f64 v[141:142], v[28:29], s[6:7], v[20:21]
	v_fma_f64 v[20:21], v[24:25], s[2:3], v[134:135]
	;; [unrolled: 1-line block ×4, first 2 shown]
	v_add_f64 v[28:29], v[30:31], v[26:27]
	v_add_f64 v[30:31], v[34:35], -v[30:31]
	v_add_f64 v[34:35], v[4:5], -v[0:1]
	v_fma_f64 v[28:29], v[28:29], -0.5, v[38:39]
	v_add_f64 v[22:23], v[30:31], v[22:23]
	v_add_f64 v[30:31], v[14:15], -v[2:3]
	v_fma_f64 v[38:39], v[32:33], s[2:3], v[28:29]
	v_fma_f64 v[26:27], v[32:33], s[8:9], v[28:29]
	v_add_f64 v[32:33], v[8:9], -v[12:13]
	v_fma_f64 v[38:39], v[24:25], s[14:15], v[38:39]
	v_fma_f64 v[24:25], v[24:25], s[4:5], v[26:27]
	v_add_f64 v[26:27], v[10:11], -v[6:7]
	v_add_f64 v[32:33], v[32:33], v[34:35]
	v_add_f64 v[34:35], v[12:13], -v[8:9]
	v_fma_f64 v[38:39], v[22:23], s[6:7], v[38:39]
	v_fma_f64 v[134:135], v[22:23], s[6:7], v[24:25]
	v_add_f64 v[24:25], v[12:13], v[0:1]
	v_add_f64 v[22:23], v[16:17], v[8:9]
	;; [unrolled: 1-line block ×3, first 2 shown]
	v_fma_f64 v[24:25], v[24:25], -0.5, v[16:17]
	v_add_f64 v[22:23], v[22:23], v[12:13]
	v_fma_f64 v[28:29], v[26:27], s[2:3], v[24:25]
	v_fma_f64 v[24:25], v[26:27], s[8:9], v[24:25]
	v_add_f64 v[22:23], v[22:23], v[0:1]
	v_add_f64 v[0:1], v[12:13], -v[0:1]
	v_add_f64 v[12:13], v[10:11], -v[14:15]
	v_fma_f64 v[28:29], v[30:31], s[4:5], v[28:29]
	v_fma_f64 v[24:25], v[30:31], s[14:15], v[24:25]
	v_add_f64 v[22:23], v[22:23], v[4:5]
	v_fma_f64 v[28:29], v[32:33], s[6:7], v[28:29]
	v_fma_f64 v[24:25], v[32:33], s[6:7], v[24:25]
	v_add_f64 v[32:33], v[8:9], v[4:5]
	v_add_f64 v[4:5], v[8:9], -v[4:5]
	v_fma_f64 v[16:17], v[32:33], -0.5, v[16:17]
	v_fma_f64 v[32:33], v[30:31], s[8:9], v[16:17]
	v_fma_f64 v[16:17], v[30:31], s[2:3], v[16:17]
	v_add_f64 v[30:31], v[6:7], -v[2:3]
	v_fma_f64 v[32:33], v[26:27], s[4:5], v[32:33]
	v_fma_f64 v[16:17], v[26:27], s[14:15], v[16:17]
	v_add_f64 v[12:13], v[12:13], v[30:31]
	v_fma_f64 v[32:33], v[34:35], s[6:7], v[32:33]
	v_fma_f64 v[26:27], v[34:35], s[6:7], v[16:17]
	v_add_f64 v[16:17], v[18:19], v[10:11]
	v_add_f64 v[16:17], v[16:17], v[14:15]
	;; [unrolled: 1-line block ×5, first 2 shown]
	v_add_f64 v[2:3], v[2:3], -v[6:7]
	v_fma_f64 v[16:17], v[16:17], -0.5, v[18:19]
	v_fma_f64 v[8:9], v[4:5], s[8:9], v[16:17]
	v_fma_f64 v[8:9], v[0:1], s[14:15], v[8:9]
	;; [unrolled: 1-line block ×6, first 2 shown]
	v_add_f64 v[8:9], v[10:11], v[6:7]
	v_add_f64 v[10:11], v[14:15], -v[10:11]
	v_mul_f64 v[6:7], v[28:29], s[14:15]
	v_fma_f64 v[8:9], v[8:9], -0.5, v[18:19]
	v_add_f64 v[2:3], v[10:11], v[2:3]
	v_mul_f64 v[18:19], v[32:33], s[8:9]
	v_fma_f64 v[12:13], v[0:1], s[2:3], v[8:9]
	v_fma_f64 v[0:1], v[0:1], s[8:9], v[8:9]
	;; [unrolled: 1-line block ×6, first 2 shown]
	v_mul_f64 v[2:3], v[28:29], s[16:17]
	v_fma_f64 v[28:29], v[30:31], s[16:17], v[6:7]
	v_add_f64 v[0:1], v[122:123], v[22:23]
	v_add_f64 v[22:23], v[122:123], -v[22:23]
	v_fma_f64 v[145:146], v[30:31], s[4:5], v[2:3]
	v_mul_f64 v[2:3], v[10:11], s[2:3]
	v_add_f64 v[6:7], v[141:142], v[28:29]
	v_add_f64 v[28:29], v[141:142], -v[28:29]
	v_add_f64 v[4:5], v[132:133], v[145:146]
	v_fma_f64 v[151:152], v[32:33], s[6:7], v[2:3]
	v_mul_f64 v[2:3], v[26:27], s[18:19]
	v_fma_f64 v[32:33], v[10:11], s[6:7], v[18:19]
	v_mul_f64 v[18:19], v[34:35], s[20:21]
	v_add_f64 v[8:9], v[139:140], v[151:152]
	v_fma_f64 v[154:155], v[14:15], s[2:3], v[2:3]
	v_mul_f64 v[2:3], v[24:25], s[20:21]
	v_mul_f64 v[14:15], v[14:15], s[18:19]
	v_fma_f64 v[160:161], v[24:25], s[14:15], v[18:19]
	v_add_f64 v[10:11], v[38:39], v[32:33]
	v_add_f64 v[30:31], v[139:140], -v[151:152]
	v_add_f64 v[24:25], v[126:127], -v[143:144]
	;; [unrolled: 1-line block ×3, first 2 shown]
	v_add_f64 v[12:13], v[36:37], v[154:155]
	v_fma_f64 v[156:157], v[34:35], s[4:5], v[2:3]
	v_fma_f64 v[158:159], v[26:27], s[8:9], v[14:15]
	v_add_f64 v[18:19], v[20:21], v[160:161]
	v_add_f64 v[2:3], v[126:127], v[143:144]
	v_add_f64 v[34:35], v[36:37], -v[154:155]
	v_add_f64 v[26:27], v[132:133], -v[145:146]
	v_add_f64 v[16:17], v[124:125], v[156:157]
	v_add_f64 v[122:123], v[124:125], -v[156:157]
	v_add_f64 v[124:125], v[20:21], -v[160:161]
	v_mul_lo_u16_e32 v20, 10, v168
	v_lshlrev_b32_e32 v149, 4, v20
	v_mul_u32_u24_e32 v20, 10, v121
	v_lshlrev_b32_e32 v155, 4, v20
	ds_write_b128 v149, v[40:43]
	ds_write_b128 v149, v[44:47] offset:16
	ds_write_b128 v149, v[48:51] offset:32
	;; [unrolled: 1-line block ×9, first 2 shown]
	ds_write_b128 v155, v[80:83]
	ds_write_b128 v155, v[84:87] offset:16
	ds_write_b128 v155, v[96:99] offset:32
	;; [unrolled: 1-line block ×9, first 2 shown]
	v_mul_lo_u16_sdwa v96, v168, s22 dst_sel:DWORD dst_unused:UNUSED_PAD src0_sel:BYTE_0 src1_sel:DWORD
	v_add_f64 v[14:15], v[134:135], v[158:159]
	v_lshrrev_b16_e32 v139, 11, v96
	v_mul_lo_u16_e32 v96, 10, v139
	v_sub_u16_e32 v96, v168, v96
	v_mul_u32_u24_e32 v20, 10, v150
	v_and_b32_e32 v140, 0xff, v96
	v_add_f64 v[36:37], v[134:135], -v[158:159]
	v_lshlrev_b32_e32 v154, 4, v20
	v_lshlrev_b32_e32 v96, 5, v140
	ds_write_b128 v154, v[0:3]
	ds_write_b128 v154, v[4:7] offset:16
	ds_write_b128 v154, v[8:11] offset:32
	;; [unrolled: 1-line block ×9, first 2 shown]
	s_waitcnt lgkmcnt(0)
	s_barrier
	ds_read_b128 v[36:39], v120
	ds_read_b128 v[88:91], v120 offset:16000
	ds_read_b128 v[92:95], v120 offset:32000
	;; [unrolled: 1-line block ×29, first 2 shown]
	global_load_dwordx4 v[108:111], v96, s[10:11] offset:16
	global_load_dwordx4 v[114:117], v96, s[10:11]
	s_waitcnt vmcnt(0)
	buffer_store_dword v114, off, s[36:39], 0 offset:508 ; 4-byte Folded Spill
	s_nop 0
	buffer_store_dword v115, off, s[36:39], 0 offset:512 ; 4-byte Folded Spill
	buffer_store_dword v116, off, s[36:39], 0 offset:516 ; 4-byte Folded Spill
	;; [unrolled: 1-line block ×4, first 2 shown]
	s_nop 0
	buffer_store_dword v109, off, s[36:39], 0 offset:496 ; 4-byte Folded Spill
	buffer_store_dword v110, off, s[36:39], 0 offset:500 ; 4-byte Folded Spill
	;; [unrolled: 1-line block ×3, first 2 shown]
	s_waitcnt lgkmcnt(14)
	v_mul_f64 v[96:97], v[90:91], v[116:117]
	v_fma_f64 v[112:113], v[88:89], v[114:115], -v[96:97]
	v_mul_f64 v[88:89], v[88:89], v[116:117]
	v_fma_f64 v[118:119], v[90:91], v[114:115], v[88:89]
	v_mul_f64 v[88:89], v[94:95], v[110:111]
	v_fma_f64 v[116:117], v[92:93], v[108:109], -v[88:89]
	v_mul_f64 v[88:89], v[92:93], v[110:111]
	v_fma_f64 v[134:135], v[94:95], v[108:109], v[88:89]
	v_mul_lo_u16_sdwa v88, v121, s22 dst_sel:DWORD dst_unused:UNUSED_PAD src0_sel:BYTE_0 src1_sel:DWORD
	v_lshrrev_b16_e32 v141, 11, v88
	v_mul_lo_u16_e32 v88, 10, v141
	v_sub_u16_e32 v88, v121, v88
	v_and_b32_e32 v142, 0xff, v88
	v_lshlrev_b32_e32 v88, 5, v142
	global_load_dwordx4 v[90:93], v88, s[10:11] offset:16
	s_waitcnt vmcnt(0)
	buffer_store_dword v90, off, s[36:39], 0 offset:524 ; 4-byte Folded Spill
	s_nop 0
	buffer_store_dword v91, off, s[36:39], 0 offset:528 ; 4-byte Folded Spill
	buffer_store_dword v92, off, s[36:39], 0 offset:532 ; 4-byte Folded Spill
	;; [unrolled: 1-line block ×3, first 2 shown]
	global_load_dwordx4 v[94:97], v88, s[10:11]
	s_waitcnt vmcnt(0)
	buffer_store_dword v94, off, s[36:39], 0 offset:540 ; 4-byte Folded Spill
	s_nop 0
	buffer_store_dword v95, off, s[36:39], 0 offset:544 ; 4-byte Folded Spill
	buffer_store_dword v96, off, s[36:39], 0 offset:548 ; 4-byte Folded Spill
	;; [unrolled: 1-line block ×3, first 2 shown]
	s_mov_b32 s22, 0xcccd
	v_mul_f64 v[88:89], v[102:103], v[96:97]
	v_fma_f64 v[98:99], v[100:101], v[94:95], -v[88:89]
	v_mul_f64 v[88:89], v[100:101], v[96:97]
	v_fma_f64 v[110:111], v[102:103], v[94:95], v[88:89]
	v_mul_f64 v[88:89], v[106:107], v[92:93]
	v_fma_f64 v[100:101], v[104:105], v[90:91], -v[88:89]
	v_mul_f64 v[88:89], v[104:105], v[92:93]
	v_fma_f64 v[114:115], v[106:107], v[90:91], v[88:89]
	v_mul_u32_u24_sdwa v88, v150, s22 dst_sel:DWORD dst_unused:UNUSED_PAD src0_sel:WORD_0 src1_sel:DWORD
	v_lshrrev_b32_e32 v143, 19, v88
	v_mul_lo_u16_e32 v88, 10, v143
	v_sub_u16_e32 v144, v150, v88
	v_lshlrev_b16_e32 v88, 1, v144
	v_lshlrev_b32_e32 v88, 4, v88
	global_load_dwordx4 v[90:93], v88, s[10:11] offset:16
	s_waitcnt vmcnt(0)
	buffer_store_dword v90, off, s[36:39], 0 offset:556 ; 4-byte Folded Spill
	s_nop 0
	buffer_store_dword v91, off, s[36:39], 0 offset:560 ; 4-byte Folded Spill
	buffer_store_dword v92, off, s[36:39], 0 offset:564 ; 4-byte Folded Spill
	;; [unrolled: 1-line block ×3, first 2 shown]
	global_load_dwordx4 v[102:105], v88, s[10:11]
	s_waitcnt vmcnt(0)
	buffer_store_dword v102, off, s[36:39], 0 offset:572 ; 4-byte Folded Spill
	s_nop 0
	buffer_store_dword v103, off, s[36:39], 0 offset:576 ; 4-byte Folded Spill
	buffer_store_dword v104, off, s[36:39], 0 offset:580 ; 4-byte Folded Spill
	buffer_store_dword v105, off, s[36:39], 0 offset:584 ; 4-byte Folded Spill
	v_mul_f64 v[88:89], v[124:125], v[104:105]
	v_fma_f64 v[94:95], v[122:123], v[102:103], -v[88:89]
	v_mul_f64 v[88:89], v[122:123], v[104:105]
	v_fma_f64 v[106:107], v[124:125], v[102:103], v[88:89]
	v_mul_f64 v[88:89], v[158:159], v[92:93]
	v_fma_f64 v[96:97], v[156:157], v[90:91], -v[88:89]
	v_mul_f64 v[88:89], v[156:157], v[92:93]
	v_fma_f64 v[108:109], v[158:159], v[90:91], v[88:89]
	v_mul_u32_u24_sdwa v88, v128, s22 dst_sel:DWORD dst_unused:UNUSED_PAD src0_sel:WORD_0 src1_sel:DWORD
	v_lshrrev_b32_e32 v145, 19, v88
	v_mul_lo_u16_e32 v88, 10, v145
	v_sub_u16_e32 v146, v128, v88
	v_lshlrev_b16_e32 v88, 1, v146
	v_lshlrev_b32_e32 v88, 4, v88
	global_load_dwordx4 v[122:125], v88, s[10:11] offset:16
	s_waitcnt vmcnt(0)
	buffer_store_dword v122, off, s[36:39], 0 offset:588 ; 4-byte Folded Spill
	s_nop 0
	buffer_store_dword v123, off, s[36:39], 0 offset:592 ; 4-byte Folded Spill
	buffer_store_dword v124, off, s[36:39], 0 offset:596 ; 4-byte Folded Spill
	;; [unrolled: 1-line block ×3, first 2 shown]
	global_load_dwordx4 v[102:105], v88, s[10:11]
	s_waitcnt vmcnt(0)
	buffer_store_dword v102, off, s[36:39], 0 offset:604 ; 4-byte Folded Spill
	s_nop 0
	buffer_store_dword v103, off, s[36:39], 0 offset:608 ; 4-byte Folded Spill
	buffer_store_dword v104, off, s[36:39], 0 offset:612 ; 4-byte Folded Spill
	;; [unrolled: 1-line block ×3, first 2 shown]
	v_mul_f64 v[88:89], v[162:163], v[104:105]
	v_fma_f64 v[90:91], v[160:161], v[102:103], -v[88:89]
	v_mul_f64 v[88:89], v[160:161], v[104:105]
	v_fma_f64 v[102:103], v[162:163], v[102:103], v[88:89]
	v_mul_f64 v[88:89], v[166:167], v[124:125]
	v_fma_f64 v[92:93], v[164:165], v[122:123], -v[88:89]
	v_mul_f64 v[88:89], v[164:165], v[124:125]
	v_fma_f64 v[104:105], v[166:167], v[122:123], v[88:89]
	v_mul_u32_u24_sdwa v88, v129, s22 dst_sel:DWORD dst_unused:UNUSED_PAD src0_sel:WORD_0 src1_sel:DWORD
	v_lshrrev_b32_e32 v147, 19, v88
	v_mul_lo_u16_e32 v88, 10, v147
	v_sub_u16_e32 v151, v129, v88
	v_lshlrev_b16_e32 v88, 1, v151
	v_lshlrev_b32_e32 v88, 4, v88
	global_load_dwordx4 v[122:125], v88, s[10:11] offset:16
	global_load_dwordx4 v[126:129], v88, s[10:11]
	s_waitcnt vmcnt(0)
	buffer_store_dword v126, off, s[36:39], 0 offset:636 ; 4-byte Folded Spill
	s_nop 0
	buffer_store_dword v127, off, s[36:39], 0 offset:640 ; 4-byte Folded Spill
	buffer_store_dword v128, off, s[36:39], 0 offset:644 ; 4-byte Folded Spill
	;; [unrolled: 1-line block ×4, first 2 shown]
	s_nop 0
	buffer_store_dword v123, off, s[36:39], 0 offset:624 ; 4-byte Folded Spill
	buffer_store_dword v124, off, s[36:39], 0 offset:628 ; 4-byte Folded Spill
	;; [unrolled: 1-line block ×3, first 2 shown]
	v_mul_f64 v[88:89], v[86:87], v[128:129]
	v_fma_f64 v[88:89], v[84:85], v[126:127], -v[88:89]
	v_mul_f64 v[84:85], v[84:85], v[128:129]
	v_fma_f64 v[86:87], v[86:87], v[126:127], v[84:85]
	v_mul_f64 v[84:85], v[82:83], v[124:125]
	v_fma_f64 v[84:85], v[80:81], v[122:123], -v[84:85]
	v_mul_f64 v[80:81], v[80:81], v[124:125]
	v_fma_f64 v[80:81], v[82:83], v[122:123], v[80:81]
	v_mul_u32_u24_sdwa v82, v131, s22 dst_sel:DWORD dst_unused:UNUSED_PAD src0_sel:WORD_0 src1_sel:DWORD
	v_lshrrev_b32_e32 v152, 19, v82
	v_mul_lo_u16_e32 v82, 10, v152
	v_sub_u16_e32 v156, v131, v82
	v_lshlrev_b16_e32 v82, 1, v156
	v_lshlrev_b32_e32 v82, 4, v82
	global_load_dwordx4 v[124:127], v82, s[10:11] offset:16
	global_load_dwordx4 v[157:160], v82, s[10:11]
	s_waitcnt vmcnt(0) lgkmcnt(13)
	v_mul_f64 v[82:83], v[78:79], v[159:160]
	v_fma_f64 v[122:123], v[76:77], v[157:158], -v[82:83]
	buffer_store_dword v157, off, s[36:39], 0 offset:664 ; 4-byte Folded Spill
	s_nop 0
	buffer_store_dword v158, off, s[36:39], 0 offset:668 ; 4-byte Folded Spill
	buffer_store_dword v159, off, s[36:39], 0 offset:672 ; 4-byte Folded Spill
	;; [unrolled: 1-line block ×4, first 2 shown]
	s_nop 0
	buffer_store_dword v125, off, s[36:39], 0 offset:684 ; 4-byte Folded Spill
	buffer_store_dword v126, off, s[36:39], 0 offset:688 ; 4-byte Folded Spill
	buffer_store_dword v127, off, s[36:39], 0 offset:692 ; 4-byte Folded Spill
	v_mul_f64 v[76:77], v[76:77], v[159:160]
	v_fma_f64 v[132:133], v[78:79], v[157:158], v[76:77]
	s_waitcnt lgkmcnt(12)
	v_mul_f64 v[76:77], v[74:75], v[126:127]
	v_fma_f64 v[128:129], v[72:73], v[124:125], -v[76:77]
	v_mul_f64 v[72:73], v[72:73], v[126:127]
	v_fma_f64 v[162:163], v[74:75], v[124:125], v[72:73]
	v_mul_u32_u24_sdwa v72, v130, s22 dst_sel:DWORD dst_unused:UNUSED_PAD src0_sel:WORD_0 src1_sel:DWORD
	v_lshrrev_b32_e32 v157, 19, v72
	v_mul_lo_u16_e32 v72, 10, v157
	v_sub_u16_e32 v158, v130, v72
	v_lshlrev_b16_e32 v72, 1, v158
	v_lshlrev_b32_e32 v72, 4, v72
	global_load_dwordx4 v[164:167], v72, s[10:11] offset:16
	global_load_dwordx4 v[124:127], v72, s[10:11]
	s_waitcnt vmcnt(0) lgkmcnt(10)
	v_mul_f64 v[72:73], v[70:71], v[126:127]
	v_fma_f64 v[76:77], v[68:69], v[124:125], -v[72:73]
	buffer_store_dword v124, off, s[36:39], 0 offset:764 ; 4-byte Folded Spill
	s_nop 0
	buffer_store_dword v125, off, s[36:39], 0 offset:768 ; 4-byte Folded Spill
	buffer_store_dword v126, off, s[36:39], 0 offset:772 ; 4-byte Folded Spill
	;; [unrolled: 1-line block ×4, first 2 shown]
	s_nop 0
	buffer_store_dword v165, off, s[36:39], 0 offset:784 ; 4-byte Folded Spill
	buffer_store_dword v166, off, s[36:39], 0 offset:788 ; 4-byte Folded Spill
	;; [unrolled: 1-line block ×3, first 2 shown]
	v_mul_f64 v[68:69], v[68:69], v[126:127]
	v_fma_f64 v[126:127], v[70:71], v[124:125], v[68:69]
	s_waitcnt lgkmcnt(9)
	v_mul_f64 v[68:69], v[66:67], v[166:167]
	v_fma_f64 v[82:83], v[64:65], v[164:165], -v[68:69]
	v_mul_f64 v[64:65], v[64:65], v[166:167]
	v_fma_f64 v[130:131], v[66:67], v[164:165], v[64:65]
	v_mul_u32_u24_sdwa v64, v137, s22 dst_sel:DWORD dst_unused:UNUSED_PAD src0_sel:WORD_0 src1_sel:DWORD
	v_lshrrev_b32_e32 v159, 19, v64
	v_mul_lo_u16_e32 v64, 10, v159
	v_sub_u16_e32 v137, v137, v64
	v_lshlrev_b16_e32 v64, 1, v137
	v_lshlrev_b32_e32 v64, 4, v64
	global_load_dwordx4 v[70:73], v64, s[10:11] offset:16
	global_load_dwordx4 v[164:167], v64, s[10:11]
	s_waitcnt vmcnt(0) lgkmcnt(7)
	v_mul_f64 v[64:65], v[62:63], v[166:167]
	v_fma_f64 v[68:69], v[60:61], v[164:165], -v[64:65]
	buffer_store_dword v164, off, s[36:39], 0 offset:880 ; 4-byte Folded Spill
	s_nop 0
	buffer_store_dword v165, off, s[36:39], 0 offset:884 ; 4-byte Folded Spill
	buffer_store_dword v166, off, s[36:39], 0 offset:888 ; 4-byte Folded Spill
	;; [unrolled: 1-line block ×3, first 2 shown]
	v_mul_f64 v[60:61], v[60:61], v[166:167]
	v_fma_f64 v[78:79], v[62:63], v[164:165], v[60:61]
	v_mov_b32_e32 v62, v70
	v_mov_b32_e32 v63, v71
	;; [unrolled: 1-line block ×4, first 2 shown]
	buffer_store_dword v62, off, s[36:39], 0 offset:896 ; 4-byte Folded Spill
	s_nop 0
	buffer_store_dword v63, off, s[36:39], 0 offset:900 ; 4-byte Folded Spill
	buffer_store_dword v64, off, s[36:39], 0 offset:904 ; 4-byte Folded Spill
	;; [unrolled: 1-line block ×3, first 2 shown]
	s_waitcnt lgkmcnt(6)
	v_mul_f64 v[60:61], v[58:59], v[64:65]
	v_fma_f64 v[72:73], v[56:57], v[62:63], -v[60:61]
	v_mul_f64 v[56:57], v[56:57], v[64:65]
	v_fma_f64 v[124:125], v[58:59], v[62:63], v[56:57]
	v_mul_u32_u24_sdwa v56, v138, s22 dst_sel:DWORD dst_unused:UNUSED_PAD src0_sel:WORD_0 src1_sel:DWORD
	v_lshrrev_b32_e32 v160, 19, v56
	v_mul_lo_u16_e32 v56, 10, v160
	v_sub_u16_e32 v138, v138, v56
	v_lshlrev_b16_e32 v56, 1, v138
	v_lshlrev_b32_e32 v56, 4, v56
	global_load_dwordx4 v[62:65], v56, s[10:11] offset:16
	global_load_dwordx4 v[164:167], v56, s[10:11]
	s_waitcnt vmcnt(0) lgkmcnt(4)
	v_mul_f64 v[56:57], v[54:55], v[166:167]
	v_fma_f64 v[60:61], v[52:53], v[164:165], -v[56:57]
	buffer_store_dword v164, off, s[36:39], 0 offset:920 ; 4-byte Folded Spill
	s_nop 0
	buffer_store_dword v165, off, s[36:39], 0 offset:924 ; 4-byte Folded Spill
	buffer_store_dword v166, off, s[36:39], 0 offset:928 ; 4-byte Folded Spill
	;; [unrolled: 1-line block ×3, first 2 shown]
	v_mul_f64 v[52:53], v[52:53], v[166:167]
	v_fma_f64 v[70:71], v[54:55], v[164:165], v[52:53]
	v_mov_b32_e32 v54, v62
	v_mov_b32_e32 v55, v63
	;; [unrolled: 1-line block ×4, first 2 shown]
	buffer_store_dword v54, off, s[36:39], 0 offset:936 ; 4-byte Folded Spill
	s_nop 0
	buffer_store_dword v55, off, s[36:39], 0 offset:940 ; 4-byte Folded Spill
	buffer_store_dword v56, off, s[36:39], 0 offset:944 ; 4-byte Folded Spill
	buffer_store_dword v57, off, s[36:39], 0 offset:948 ; 4-byte Folded Spill
	s_waitcnt lgkmcnt(3)
	v_mul_f64 v[52:53], v[50:51], v[56:57]
	v_fma_f64 v[64:65], v[48:49], v[54:55], -v[52:53]
	v_mul_f64 v[48:49], v[48:49], v[56:57]
	v_fma_f64 v[74:75], v[50:51], v[54:55], v[48:49]
	v_mul_u32_u24_sdwa v48, v136, s22 dst_sel:DWORD dst_unused:UNUSED_PAD src0_sel:WORD_0 src1_sel:DWORD
	v_lshrrev_b32_e32 v161, 19, v48
	v_mul_lo_u16_e32 v48, 10, v161
	v_sub_u16_e32 v136, v136, v48
	v_lshlrev_b16_e32 v48, 1, v136
	v_lshlrev_b32_e32 v48, 4, v48
	global_load_dwordx4 v[50:53], v48, s[10:11] offset:16
	global_load_dwordx4 v[164:167], v48, s[10:11]
	s_waitcnt vmcnt(0)
	buffer_store_dword v164, off, s[36:39], 0 offset:1004 ; 4-byte Folded Spill
	s_nop 0
	buffer_store_dword v165, off, s[36:39], 0 offset:1008 ; 4-byte Folded Spill
	buffer_store_dword v166, off, s[36:39], 0 offset:1012 ; 4-byte Folded Spill
	;; [unrolled: 1-line block ×4, first 2 shown]
	s_nop 0
	buffer_store_dword v51, off, s[36:39], 0 offset:1040 ; 4-byte Folded Spill
	buffer_store_dword v52, off, s[36:39], 0 offset:1044 ; 4-byte Folded Spill
	;; [unrolled: 1-line block ×3, first 2 shown]
	s_mov_b32 s22, 0xe8584caa
	s_mov_b32 s23, 0x3febb67a
	;; [unrolled: 1-line block ×3, first 2 shown]
	v_add_f64 v[54:55], v[110:111], v[114:115]
	s_waitcnt vmcnt(0) lgkmcnt(0)
	s_barrier
	v_mul_f64 v[48:49], v[46:47], v[166:167]
	v_fma_f64 v[56:57], v[44:45], v[164:165], -v[48:49]
	v_mul_f64 v[44:45], v[44:45], v[166:167]
	v_add_f64 v[48:49], v[112:113], -v[116:117]
	v_fma_f64 v[62:63], v[46:47], v[164:165], v[44:45]
	v_mul_f64 v[44:45], v[42:43], v[52:53]
	v_add_f64 v[46:47], v[118:119], v[134:135]
	v_fma_f64 v[58:59], v[40:41], v[50:51], -v[44:45]
	v_mul_f64 v[40:41], v[40:41], v[52:53]
	v_fma_f64 v[66:67], v[42:43], v[50:51], v[40:41]
	v_add_f64 v[42:43], v[112:113], v[116:117]
	v_add_f64 v[40:41], v[36:37], v[112:113]
	v_add_f64 v[50:51], v[98:99], v[100:101]
	v_fma_f64 v[36:37], v[42:43], -0.5, v[36:37]
	v_add_f64 v[42:43], v[118:119], -v[134:135]
	v_add_f64 v[40:41], v[40:41], v[116:117]
	v_fma_f64 v[44:45], v[42:43], s[22:23], v[36:37]
	v_fma_f64 v[36:37], v[42:43], s[24:25], v[36:37]
	v_add_f64 v[42:43], v[38:39], v[118:119]
	v_fma_f64 v[38:39], v[46:47], -0.5, v[38:39]
	v_add_f64 v[42:43], v[42:43], v[134:135]
	v_fma_f64 v[46:47], v[48:49], s[24:25], v[38:39]
	v_fma_f64 v[38:39], v[48:49], s[22:23], v[38:39]
	v_add_f64 v[48:49], v[32:33], v[98:99]
	v_fma_f64 v[32:33], v[50:51], -0.5, v[32:33]
	v_add_f64 v[50:51], v[110:111], -v[114:115]
	v_add_f64 v[98:99], v[98:99], -v[100:101]
	v_add_f64 v[48:49], v[48:49], v[100:101]
	v_add_f64 v[100:101], v[94:95], v[96:97]
	v_fma_f64 v[52:53], v[50:51], s[22:23], v[32:33]
	v_fma_f64 v[32:33], v[50:51], s[24:25], v[32:33]
	v_add_f64 v[50:51], v[34:35], v[110:111]
	v_fma_f64 v[34:35], v[54:55], -0.5, v[34:35]
	v_add_f64 v[110:111], v[106:107], -v[108:109]
	v_fma_f64 v[100:101], v[100:101], -0.5, v[28:29]
	v_add_f64 v[50:51], v[50:51], v[114:115]
	v_fma_f64 v[54:55], v[98:99], s[24:25], v[34:35]
	v_fma_f64 v[34:35], v[98:99], s[22:23], v[34:35]
	v_add_f64 v[98:99], v[28:29], v[94:95]
	v_add_f64 v[94:95], v[94:95], -v[96:97]
	v_fma_f64 v[28:29], v[110:111], s[22:23], v[100:101]
	v_fma_f64 v[110:111], v[110:111], s[24:25], v[100:101]
	v_add_f64 v[100:101], v[30:31], v[106:107]
	v_add_f64 v[106:107], v[106:107], v[108:109]
	;; [unrolled: 1-line block ×5, first 2 shown]
	v_fma_f64 v[106:107], v[106:107], -0.5, v[30:31]
	v_fma_f64 v[96:97], v[96:97], -0.5, v[24:25]
	v_fma_f64 v[30:31], v[94:95], s[24:25], v[106:107]
	v_fma_f64 v[112:113], v[94:95], s[22:23], v[106:107]
	v_add_f64 v[106:107], v[102:103], -v[104:105]
	v_add_f64 v[94:95], v[24:25], v[90:91]
	v_add_f64 v[90:91], v[90:91], -v[92:93]
	v_fma_f64 v[24:25], v[106:107], s[22:23], v[96:97]
	v_fma_f64 v[106:107], v[106:107], s[24:25], v[96:97]
	v_add_f64 v[96:97], v[26:27], v[102:103]
	v_add_f64 v[102:103], v[102:103], v[104:105]
	;; [unrolled: 1-line block ×5, first 2 shown]
	v_fma_f64 v[102:103], v[102:103], -0.5, v[26:27]
	v_fma_f64 v[92:93], v[92:93], -0.5, v[20:21]
	v_fma_f64 v[26:27], v[90:91], s[24:25], v[102:103]
	v_fma_f64 v[108:109], v[90:91], s[22:23], v[102:103]
	v_add_f64 v[102:103], v[86:87], -v[80:81]
	v_add_f64 v[90:91], v[20:21], v[88:89]
	v_fma_f64 v[20:21], v[102:103], s[22:23], v[92:93]
	v_fma_f64 v[102:103], v[102:103], s[24:25], v[92:93]
	v_add_f64 v[92:93], v[22:23], v[86:87]
	v_add_f64 v[90:91], v[90:91], v[84:85]
	v_add_f64 v[84:85], v[88:89], -v[84:85]
	v_add_f64 v[88:89], v[122:123], -v[128:129]
	v_add_f64 v[92:93], v[92:93], v[80:81]
	v_add_f64 v[80:81], v[86:87], v[80:81]
	v_add_f64 v[86:87], v[132:133], -v[162:163]
	v_fma_f64 v[80:81], v[80:81], -0.5, v[22:23]
	v_fma_f64 v[22:23], v[84:85], s[24:25], v[80:81]
	v_fma_f64 v[104:105], v[84:85], s[22:23], v[80:81]
	v_add_f64 v[80:81], v[16:17], v[122:123]
	v_add_f64 v[84:85], v[80:81], v[128:129]
	;; [unrolled: 1-line block ×3, first 2 shown]
	v_fma_f64 v[80:81], v[80:81], -0.5, v[16:17]
	v_fma_f64 v[16:17], v[86:87], s[22:23], v[80:81]
	v_fma_f64 v[114:115], v[86:87], s[24:25], v[80:81]
	v_add_f64 v[80:81], v[18:19], v[132:133]
	v_add_f64 v[86:87], v[80:81], v[162:163]
	;; [unrolled: 1-line block ×3, first 2 shown]
	v_fma_f64 v[80:81], v[80:81], -0.5, v[18:19]
	v_fma_f64 v[18:19], v[88:89], s[24:25], v[80:81]
	v_fma_f64 v[116:117], v[88:89], s[22:23], v[80:81]
	v_add_f64 v[80:81], v[12:13], v[76:77]
	v_add_f64 v[88:89], v[126:127], -v[130:131]
	v_add_f64 v[132:133], v[80:81], v[82:83]
	v_add_f64 v[80:81], v[76:77], v[82:83]
	v_add_f64 v[76:77], v[76:77], -v[82:83]
	v_fma_f64 v[80:81], v[80:81], -0.5, v[12:13]
	v_fma_f64 v[12:13], v[88:89], s[22:23], v[80:81]
	v_fma_f64 v[80:81], v[88:89], s[24:25], v[80:81]
	v_add_f64 v[88:89], v[14:15], v[126:127]
	v_add_f64 v[134:135], v[88:89], v[130:131]
	;; [unrolled: 1-line block ×3, first 2 shown]
	v_fma_f64 v[88:89], v[88:89], -0.5, v[14:15]
	v_fma_f64 v[14:15], v[76:77], s[24:25], v[88:89]
	v_fma_f64 v[82:83], v[76:77], s[22:23], v[88:89]
	v_add_f64 v[76:77], v[8:9], v[68:69]
	v_add_f64 v[88:89], v[78:79], -v[124:125]
	v_add_f64 v[126:127], v[76:77], v[72:73]
	v_add_f64 v[76:77], v[68:69], v[72:73]
	v_add_f64 v[68:69], v[68:69], -v[72:73]
	v_add_f64 v[72:73], v[70:71], -v[74:75]
	v_fma_f64 v[76:77], v[76:77], -0.5, v[8:9]
	v_fma_f64 v[8:9], v[88:89], s[22:23], v[76:77]
	v_fma_f64 v[76:77], v[88:89], s[24:25], v[76:77]
	v_add_f64 v[88:89], v[10:11], v[78:79]
	v_add_f64 v[78:79], v[78:79], v[124:125]
	;; [unrolled: 1-line block ×3, first 2 shown]
	v_fma_f64 v[78:79], v[78:79], -0.5, v[10:11]
	v_mul_lo_u16_sdwa v88, v168, s31 dst_sel:DWORD dst_unused:UNUSED_PAD src0_sel:BYTE_0 src1_sel:DWORD
	v_fma_f64 v[10:11], v[68:69], s[24:25], v[78:79]
	v_fma_f64 v[78:79], v[68:69], s[22:23], v[78:79]
	v_add_f64 v[68:69], v[4:5], v[60:61]
	v_add_f64 v[122:123], v[68:69], v[64:65]
	;; [unrolled: 1-line block ×3, first 2 shown]
	v_add_f64 v[60:61], v[60:61], -v[64:65]
	v_add_f64 v[64:65], v[62:63], -v[66:67]
	v_fma_f64 v[68:69], v[68:69], -0.5, v[4:5]
	v_fma_f64 v[4:5], v[72:73], s[22:23], v[68:69]
	v_fma_f64 v[68:69], v[72:73], s[24:25], v[68:69]
	v_add_f64 v[72:73], v[6:7], v[70:71]
	v_add_f64 v[70:71], v[70:71], v[74:75]
	;; [unrolled: 1-line block ×3, first 2 shown]
	v_fma_f64 v[70:71], v[70:71], -0.5, v[6:7]
	v_fma_f64 v[6:7], v[60:61], s[24:25], v[70:71]
	v_fma_f64 v[70:71], v[60:61], s[22:23], v[70:71]
	v_add_f64 v[60:61], v[0:1], v[56:57]
	v_add_f64 v[72:73], v[60:61], v[58:59]
	;; [unrolled: 1-line block ×3, first 2 shown]
	v_add_f64 v[56:57], v[56:57], -v[58:59]
	v_fma_f64 v[60:61], v[60:61], -0.5, v[0:1]
	v_fma_f64 v[0:1], v[64:65], s[22:23], v[60:61]
	v_fma_f64 v[60:61], v[64:65], s[24:25], v[60:61]
	v_add_f64 v[64:65], v[2:3], v[62:63]
	v_add_f64 v[62:63], v[62:63], v[66:67]
	;; [unrolled: 1-line block ×3, first 2 shown]
	v_fma_f64 v[62:63], v[62:63], -0.5, v[2:3]
	v_fma_f64 v[2:3], v[56:57], s[24:25], v[62:63]
	v_fma_f64 v[62:63], v[56:57], s[22:23], v[62:63]
	v_mul_u32_u24_e32 v56, 30, v139
	v_add_lshl_u32 v56, v56, v140, 4
	buffer_store_dword v56, off, s[36:39], 0 offset:1056 ; 4-byte Folded Spill
	ds_write_b128 v56, v[40:43]
	ds_write_b128 v56, v[44:47] offset:160
	ds_write_b128 v56, v[36:39] offset:320
	v_mul_u32_u24_e32 v36, 30, v141
	v_add_lshl_u32 v36, v36, v142, 4
	buffer_store_dword v36, off, s[36:39], 0 offset:1052 ; 4-byte Folded Spill
	ds_write_b128 v36, v[48:51]
	ds_write_b128 v36, v[52:55] offset:160
	ds_write_b128 v36, v[32:35] offset:320
	v_mad_legacy_u16 v32, v143, 30, v144
	v_lshlrev_b32_e32 v32, 4, v32
	buffer_store_dword v32, off, s[36:39], 0 offset:952 ; 4-byte Folded Spill
	ds_write_b128 v32, v[98:101]
	ds_write_b128 v32, v[28:31] offset:160
	ds_write_b128 v32, v[110:113] offset:320
	v_mad_legacy_u16 v28, v145, 30, v146
	v_lshlrev_b32_e32 v28, 4, v28
	;; [unrolled: 6-line block ×5, first 2 shown]
	buffer_store_dword v16, off, s[36:39], 0 offset:760 ; 4-byte Folded Spill
	ds_write_b128 v16, v[132:135]
	ds_write_b128 v16, v[12:15] offset:160
	ds_write_b128 v16, v[80:83] offset:320
	v_mad_legacy_u16 v12, v159, 30, v137
	v_lshrrev_b16_e32 v151, 12, v88
	v_lshlrev_b32_e32 v12, 4, v12
	v_mul_lo_u16_e32 v88, 30, v151
	buffer_store_dword v12, off, s[36:39], 0 offset:660 ; 4-byte Folded Spill
	ds_write_b128 v12, v[126:129]
	ds_write_b128 v12, v[8:11] offset:160
	ds_write_b128 v12, v[76:79] offset:320
	v_sub_u16_e32 v88, v168, v88
	v_mov_b32_e32 v129, s11
	v_mad_legacy_u16 v8, v160, 30, v138
	v_and_b32_e32 v152, 0xff, v88
	v_mov_b32_e32 v128, s10
	v_lshlrev_b32_e32 v8, 4, v8
	v_mad_u64_u32 v[118:119], s[34:35], v152, s30, v[128:129]
	buffer_store_dword v8, off, s[36:39], 0 offset:656 ; 4-byte Folded Spill
	ds_write_b128 v8, v[122:125]
	ds_write_b128 v8, v[4:7] offset:160
	ds_write_b128 v8, v[68:71] offset:320
	v_mad_legacy_u16 v4, v161, 30, v136
	v_lshlrev_b32_e32 v4, 4, v4
	buffer_store_dword v4, off, s[36:39], 0 offset:652 ; 4-byte Folded Spill
	ds_write_b128 v4, v[72:75]
	ds_write_b128 v4, v[0:3] offset:160
	ds_write_b128 v4, v[60:63] offset:320
	s_waitcnt vmcnt(0) lgkmcnt(0)
	s_barrier
	ds_read_b128 v[4:7], v120
	ds_read_b128 v[84:87], v120 offset:4800
	ds_read_b128 v[90:93], v120 offset:9600
	;; [unrolled: 1-line block ×29, first 2 shown]
	buffer_store_dword v176, off, s[36:39], 0 offset:488 ; 4-byte Folded Spill
	global_load_dwordx4 v[140:143], v[118:119], off offset:368
	global_load_dwordx4 v[122:125], v[118:119], off offset:352
	;; [unrolled: 1-line block ×4, first 2 shown]
	s_waitcnt vmcnt(0) lgkmcnt(14)
	v_mul_f64 v[88:89], v[86:87], v[158:159]
	v_fma_f64 v[138:139], v[84:85], v[156:157], -v[88:89]
	buffer_store_dword v156, off, s[36:39], 0 offset:696 ; 4-byte Folded Spill
	s_nop 0
	buffer_store_dword v157, off, s[36:39], 0 offset:700 ; 4-byte Folded Spill
	buffer_store_dword v158, off, s[36:39], 0 offset:704 ; 4-byte Folded Spill
	buffer_store_dword v159, off, s[36:39], 0 offset:708 ; 4-byte Folded Spill
	buffer_store_dword v144, off, s[36:39], 0 offset:712 ; 4-byte Folded Spill
	s_nop 0
	buffer_store_dword v145, off, s[36:39], 0 offset:716 ; 4-byte Folded Spill
	buffer_store_dword v146, off, s[36:39], 0 offset:720 ; 4-byte Folded Spill
	buffer_store_dword v147, off, s[36:39], 0 offset:724 ; 4-byte Folded Spill
	;; [unrolled: 5-line block ×4, first 2 shown]
	v_mul_f64 v[84:85], v[84:85], v[158:159]
	v_fma_f64 v[88:89], v[86:87], v[156:157], v[84:85]
	v_mul_f64 v[84:85], v[92:93], v[146:147]
	v_fma_f64 v[160:161], v[90:91], v[144:145], -v[84:85]
	v_mul_f64 v[84:85], v[90:91], v[146:147]
	v_fma_f64 v[156:157], v[92:93], v[144:145], v[84:85]
	v_mul_f64 v[84:85], v[96:97], v[124:125]
	v_fma_f64 v[126:127], v[94:95], v[122:123], -v[84:85]
	;; [unrolled: 4-line block ×3, first 2 shown]
	v_mul_f64 v[84:85], v[98:99], v[142:143]
	v_fma_f64 v[158:159], v[100:101], v[140:141], v[84:85]
	global_load_dwordx4 v[90:93], v[118:119], off offset:432
	global_load_dwordx4 v[94:97], v[118:119], off offset:416
	;; [unrolled: 1-line block ×4, first 2 shown]
	s_waitcnt vmcnt(0)
	buffer_store_dword v140, off, s[36:39], 0 offset:800 ; 4-byte Folded Spill
	s_nop 0
	buffer_store_dword v141, off, s[36:39], 0 offset:804 ; 4-byte Folded Spill
	buffer_store_dword v142, off, s[36:39], 0 offset:808 ; 4-byte Folded Spill
	buffer_store_dword v143, off, s[36:39], 0 offset:812 ; 4-byte Folded Spill
	buffer_store_dword v98, off, s[36:39], 0 offset:816 ; 4-byte Folded Spill
	s_nop 0
	buffer_store_dword v99, off, s[36:39], 0 offset:820 ; 4-byte Folded Spill
	buffer_store_dword v100, off, s[36:39], 0 offset:824 ; 4-byte Folded Spill
	buffer_store_dword v101, off, s[36:39], 0 offset:828 ; 4-byte Folded Spill
	;; [unrolled: 5-line block ×4, first 2 shown]
	v_mul_f64 v[84:85], v[104:105], v[142:143]
	v_fma_f64 v[136:137], v[102:103], v[140:141], -v[84:85]
	v_mul_f64 v[84:85], v[102:103], v[142:143]
	v_fma_f64 v[130:131], v[104:105], v[140:141], v[84:85]
	v_mul_f64 v[84:85], v[108:109], v[100:101]
	v_fma_f64 v[170:171], v[106:107], v[98:99], -v[84:85]
	v_mul_f64 v[84:85], v[106:107], v[100:101]
	v_fma_f64 v[164:165], v[108:109], v[98:99], v[84:85]
	v_mul_f64 v[84:85], v[112:113], v[96:97]
	v_fma_f64 v[142:143], v[110:111], v[94:95], -v[84:85]
	v_mul_f64 v[84:85], v[110:111], v[96:97]
	v_fma_f64 v[140:141], v[112:113], v[94:95], v[84:85]
	v_mul_f64 v[84:85], v[116:117], v[92:93]
	v_fma_f64 v[172:173], v[114:115], v[90:91], -v[84:85]
	v_mul_f64 v[84:85], v[114:115], v[92:93]
	v_fma_f64 v[174:175], v[116:117], v[90:91], v[84:85]
	global_load_dwordx4 v[90:93], v[118:119], off offset:448
	s_waitcnt vmcnt(0)
	buffer_store_dword v90, off, s[36:39], 0 offset:848 ; 4-byte Folded Spill
	s_nop 0
	buffer_store_dword v91, off, s[36:39], 0 offset:852 ; 4-byte Folded Spill
	buffer_store_dword v92, off, s[36:39], 0 offset:856 ; 4-byte Folded Spill
	;; [unrolled: 1-line block ×3, first 2 shown]
	v_mul_f64 v[84:85], v[134:135], v[92:93]
	v_fma_f64 v[146:147], v[132:133], v[90:91], -v[84:85]
	v_mul_f64 v[84:85], v[132:133], v[92:93]
	v_fma_f64 v[144:145], v[134:135], v[90:91], v[84:85]
	v_mul_lo_u16_sdwa v84, v121, s31 dst_sel:DWORD dst_unused:UNUSED_PAD src0_sel:BYTE_0 src1_sel:DWORD
	v_lshrrev_b16_e32 v168, 12, v84
	v_mul_lo_u16_e32 v84, 30, v168
	v_sub_u16_e32 v84, v121, v84
	v_and_b32_e32 v121, 0xff, v84
	v_mad_u64_u32 v[84:85], s[34:35], v121, s30, v[128:129]
	global_load_dwordx4 v[90:93], v[84:85], off offset:368
	global_load_dwordx4 v[94:97], v[84:85], off offset:352
	;; [unrolled: 1-line block ×4, first 2 shown]
	s_mov_b32 s31, 0x8889
	s_waitcnt vmcnt(0)
	v_mul_f64 v[86:87], v[82:83], v[104:105]
	v_fma_f64 v[122:123], v[80:81], v[102:103], -v[86:87]
	buffer_store_dword v102, off, s[36:39], 0 offset:956 ; 4-byte Folded Spill
	s_nop 0
	buffer_store_dword v103, off, s[36:39], 0 offset:960 ; 4-byte Folded Spill
	buffer_store_dword v104, off, s[36:39], 0 offset:964 ; 4-byte Folded Spill
	buffer_store_dword v105, off, s[36:39], 0 offset:968 ; 4-byte Folded Spill
	buffer_store_dword v98, off, s[36:39], 0 offset:972 ; 4-byte Folded Spill
	s_nop 0
	buffer_store_dword v99, off, s[36:39], 0 offset:976 ; 4-byte Folded Spill
	buffer_store_dword v100, off, s[36:39], 0 offset:980 ; 4-byte Folded Spill
	buffer_store_dword v101, off, s[36:39], 0 offset:984 ; 4-byte Folded Spill
	;; [unrolled: 5-line block ×4, first 2 shown]
	v_mul_f64 v[80:81], v[80:81], v[104:105]
	v_fma_f64 v[80:81], v[82:83], v[102:103], v[80:81]
	v_mul_f64 v[82:83], v[78:79], v[100:101]
	v_fma_f64 v[82:83], v[76:77], v[98:99], -v[82:83]
	v_mul_f64 v[76:77], v[76:77], v[100:101]
	v_fma_f64 v[78:79], v[78:79], v[98:99], v[76:77]
	v_mul_f64 v[76:77], v[74:75], v[96:97]
	v_fma_f64 v[76:77], v[72:73], v[94:95], -v[76:77]
	;; [unrolled: 4-line block ×3, first 2 shown]
	v_mul_f64 v[68:69], v[68:69], v[92:93]
	v_fma_f64 v[70:71], v[70:71], v[90:91], v[68:69]
	global_load_dwordx4 v[90:93], v[84:85], off offset:432
	global_load_dwordx4 v[94:97], v[84:85], off offset:416
	;; [unrolled: 1-line block ×4, first 2 shown]
	s_waitcnt vmcnt(0)
	v_mul_f64 v[68:69], v[66:67], v[104:105]
	v_fma_f64 v[68:69], v[64:65], v[102:103], -v[68:69]
	buffer_store_dword v102, off, s[36:39], 0 offset:1060 ; 4-byte Folded Spill
	s_nop 0
	buffer_store_dword v103, off, s[36:39], 0 offset:1064 ; 4-byte Folded Spill
	buffer_store_dword v104, off, s[36:39], 0 offset:1068 ; 4-byte Folded Spill
	buffer_store_dword v105, off, s[36:39], 0 offset:1072 ; 4-byte Folded Spill
	buffer_store_dword v98, off, s[36:39], 0 offset:1076 ; 4-byte Folded Spill
	s_nop 0
	buffer_store_dword v99, off, s[36:39], 0 offset:1080 ; 4-byte Folded Spill
	buffer_store_dword v100, off, s[36:39], 0 offset:1084 ; 4-byte Folded Spill
	buffer_store_dword v101, off, s[36:39], 0 offset:1088 ; 4-byte Folded Spill
	;; [unrolled: 5-line block ×4, first 2 shown]
	global_load_dwordx4 v[84:87], v[84:85], off offset:448
	v_mul_f64 v[64:65], v[64:65], v[104:105]
	v_fma_f64 v[64:65], v[66:67], v[102:103], v[64:65]
	s_waitcnt lgkmcnt(13)
	v_mul_f64 v[66:67], v[62:63], v[100:101]
	v_fma_f64 v[66:67], v[60:61], v[98:99], -v[66:67]
	v_mul_f64 v[60:61], v[60:61], v[100:101]
	v_fma_f64 v[62:63], v[62:63], v[98:99], v[60:61]
	s_waitcnt lgkmcnt(12)
	v_mul_f64 v[60:61], v[58:59], v[96:97]
	v_fma_f64 v[60:61], v[56:57], v[94:95], -v[60:61]
	;; [unrolled: 5-line block ×3, first 2 shown]
	v_mul_f64 v[52:53], v[52:53], v[92:93]
	v_fma_f64 v[54:55], v[54:55], v[90:91], v[52:53]
	s_waitcnt vmcnt(0) lgkmcnt(10)
	v_mul_f64 v[52:53], v[50:51], v[86:87]
	v_fma_f64 v[52:53], v[48:49], v[84:85], -v[52:53]
	buffer_store_dword v84, off, s[36:39], 0 offset:1124 ; 4-byte Folded Spill
	s_nop 0
	buffer_store_dword v85, off, s[36:39], 0 offset:1128 ; 4-byte Folded Spill
	buffer_store_dword v86, off, s[36:39], 0 offset:1132 ; 4-byte Folded Spill
	;; [unrolled: 1-line block ×3, first 2 shown]
	v_mul_f64 v[48:49], v[48:49], v[86:87]
	v_fma_f64 v[48:49], v[50:51], v[84:85], v[48:49]
	v_mul_u32_u24_sdwa v50, v150, s31 dst_sel:DWORD dst_unused:UNUSED_PAD src0_sel:WORD_0 src1_sel:DWORD
	v_lshrrev_b32_e32 v169, 20, v50
	v_mul_lo_u16_e32 v50, 30, v169
	v_sub_u16_e32 v150, v150, v50
	v_mul_lo_u16_e32 v50, 0x90, v150
	v_add_co_u32_e32 v50, vcc, s10, v50
	v_mov_b32_e32 v51, s11
	v_addc_co_u32_e32 v51, vcc, 0, v51, vcc
	global_load_dwordx4 v[92:95], v[50:51], off offset:368
	global_load_dwordx4 v[100:103], v[50:51], off offset:352
	;; [unrolled: 1-line block ×4, first 2 shown]
	s_waitcnt vmcnt(0) lgkmcnt(8)
	v_mul_f64 v[84:85], v[42:43], v[110:111]
	v_fma_f64 v[98:99], v[40:41], v[108:109], -v[84:85]
	buffer_store_dword v108, off, s[36:39], 0 offset:1268 ; 4-byte Folded Spill
	s_nop 0
	buffer_store_dword v109, off, s[36:39], 0 offset:1272 ; 4-byte Folded Spill
	buffer_store_dword v110, off, s[36:39], 0 offset:1276 ; 4-byte Folded Spill
	buffer_store_dword v111, off, s[36:39], 0 offset:1280 ; 4-byte Folded Spill
	buffer_store_dword v104, off, s[36:39], 0 offset:1284 ; 4-byte Folded Spill
	s_nop 0
	buffer_store_dword v105, off, s[36:39], 0 offset:1288 ; 4-byte Folded Spill
	buffer_store_dword v106, off, s[36:39], 0 offset:1292 ; 4-byte Folded Spill
	buffer_store_dword v107, off, s[36:39], 0 offset:1296 ; 4-byte Folded Spill
	;; [unrolled: 5-line block ×4, first 2 shown]
	v_mul_f64 v[40:41], v[40:41], v[110:111]
	v_fma_f64 v[84:85], v[42:43], v[108:109], v[40:41]
	s_waitcnt lgkmcnt(7)
	v_mul_f64 v[40:41], v[38:39], v[106:107]
	v_fma_f64 v[110:111], v[36:37], v[104:105], -v[40:41]
	v_mul_f64 v[36:37], v[36:37], v[106:107]
	v_fma_f64 v[106:107], v[38:39], v[104:105], v[36:37]
	s_waitcnt lgkmcnt(6)
	v_mul_f64 v[36:37], v[34:35], v[102:103]
	v_fma_f64 v[90:91], v[32:33], v[100:101], -v[36:37]
	;; [unrolled: 5-line block ×3, first 2 shown]
	v_mul_f64 v[28:29], v[28:29], v[94:95]
	v_fma_f64 v[108:109], v[30:31], v[92:93], v[28:29]
	global_load_dwordx4 v[30:33], v[50:51], off offset:432
	global_load_dwordx4 v[34:37], v[50:51], off offset:416
	;; [unrolled: 1-line block ×4, first 2 shown]
	s_waitcnt vmcnt(1)
	buffer_store_dword v38, off, s[36:39], 0 offset:1348 ; 4-byte Folded Spill
	s_nop 0
	buffer_store_dword v39, off, s[36:39], 0 offset:1352 ; 4-byte Folded Spill
	buffer_store_dword v40, off, s[36:39], 0 offset:1356 ; 4-byte Folded Spill
	buffer_store_dword v41, off, s[36:39], 0 offset:1360 ; 4-byte Folded Spill
	buffer_store_dword v34, off, s[36:39], 0 offset:1364 ; 4-byte Folded Spill
	s_nop 0
	buffer_store_dword v35, off, s[36:39], 0 offset:1368 ; 4-byte Folded Spill
	buffer_store_dword v36, off, s[36:39], 0 offset:1372 ; 4-byte Folded Spill
	buffer_store_dword v37, off, s[36:39], 0 offset:1376 ; 4-byte Folded Spill
	;; [unrolled: 5-line block ×3, first 2 shown]
	global_load_dwordx4 v[236:239], v[50:51], off offset:448
	s_waitcnt vmcnt(13) lgkmcnt(4)
	v_mul_f64 v[28:29], v[26:27], v[250:251]
	s_waitcnt vmcnt(0) lgkmcnt(0)
	s_barrier
	v_fma_f64 v[94:95], v[24:25], v[248:249], -v[28:29]
	v_mul_f64 v[24:25], v[24:25], v[250:251]
	v_fma_f64 v[92:93], v[26:27], v[248:249], v[24:25]
	v_mul_f64 v[24:25], v[22:23], v[40:41]
	v_fma_f64 v[118:119], v[20:21], v[38:39], -v[24:25]
	v_mul_f64 v[20:21], v[20:21], v[40:41]
	v_fma_f64 v[114:115], v[22:23], v[38:39], v[20:21]
	v_mul_f64 v[20:21], v[18:19], v[36:37]
	v_fma_f64 v[100:101], v[16:17], v[34:35], -v[20:21]
	v_mul_f64 v[16:17], v[16:17], v[36:37]
	v_add_f64 v[20:21], v[140:141], -v[144:145]
	v_fma_f64 v[96:97], v[18:19], v[34:35], v[16:17]
	v_mul_f64 v[16:17], v[14:15], v[32:33]
	v_add_f64 v[18:19], v[172:173], -v[170:171]
	v_fma_f64 v[166:167], v[12:13], v[30:31], -v[16:17]
	v_mul_f64 v[12:13], v[12:13], v[32:33]
	v_add_f64 v[16:17], v[160:161], -v[162:163]
	v_fma_f64 v[116:117], v[14:15], v[30:31], v[12:13]
	v_mul_f64 v[12:13], v[10:11], v[238:239]
	v_add_f64 v[14:15], v[158:159], -v[164:165]
	v_add_f64 v[16:17], v[16:17], v[18:19]
	v_add_f64 v[18:19], v[144:145], -v[140:141]
	v_fma_f64 v[104:105], v[8:9], v[236:237], -v[12:13]
	v_mul_f64 v[8:9], v[8:9], v[238:239]
	v_fma_f64 v[102:103], v[10:11], v[236:237], v[8:9]
	v_add_f64 v[8:9], v[4:5], v[160:161]
	v_add_f64 v[10:11], v[156:157], -v[174:175]
	v_add_f64 v[8:9], v[8:9], v[162:163]
	v_add_f64 v[8:9], v[8:9], v[170:171]
	;; [unrolled: 1-line block ×4, first 2 shown]
	v_fma_f64 v[8:9], v[8:9], -0.5, v[4:5]
	v_fma_f64 v[12:13], v[10:11], s[2:3], v[8:9]
	v_fma_f64 v[8:9], v[10:11], s[8:9], v[8:9]
	v_fma_f64 v[12:13], v[14:15], s[4:5], v[12:13]
	v_fma_f64 v[8:9], v[14:15], s[14:15], v[8:9]
	v_fma_f64 v[28:29], v[16:17], s[6:7], v[12:13]
	v_fma_f64 v[34:35], v[16:17], s[6:7], v[8:9]
	v_add_f64 v[8:9], v[160:161], v[172:173]
	v_add_f64 v[12:13], v[162:163], -v[160:161]
	v_add_f64 v[16:17], v[170:171], -v[172:173]
	v_fma_f64 v[4:5], v[8:9], -0.5, v[4:5]
	v_add_f64 v[12:13], v[12:13], v[16:17]
	v_add_f64 v[16:17], v[174:175], -v[164:165]
	v_fma_f64 v[8:9], v[14:15], s[8:9], v[4:5]
	v_fma_f64 v[4:5], v[14:15], s[2:3], v[4:5]
	v_add_f64 v[14:15], v[156:157], -v[158:159]
	v_fma_f64 v[8:9], v[10:11], s[4:5], v[8:9]
	v_fma_f64 v[4:5], v[10:11], s[14:15], v[4:5]
	v_add_f64 v[14:15], v[14:15], v[16:17]
	v_add_f64 v[16:17], v[142:143], -v[146:147]
	v_fma_f64 v[32:33], v[12:13], s[6:7], v[8:9]
	v_fma_f64 v[38:39], v[12:13], s[6:7], v[4:5]
	v_add_f64 v[4:5], v[6:7], v[156:157]
	v_add_f64 v[8:9], v[160:161], -v[172:173]
	v_add_f64 v[12:13], v[162:163], -v[170:171]
	v_add_f64 v[4:5], v[4:5], v[158:159]
	v_add_f64 v[4:5], v[4:5], v[164:165]
	;; [unrolled: 1-line block ×4, first 2 shown]
	v_fma_f64 v[4:5], v[4:5], -0.5, v[6:7]
	v_fma_f64 v[10:11], v[8:9], s[8:9], v[4:5]
	v_fma_f64 v[4:5], v[8:9], s[2:3], v[4:5]
	;; [unrolled: 1-line block ×6, first 2 shown]
	v_add_f64 v[4:5], v[156:157], v[174:175]
	v_add_f64 v[10:11], v[158:159], -v[156:157]
	v_add_f64 v[14:15], v[164:165], -v[174:175]
	v_fma_f64 v[4:5], v[4:5], -0.5, v[6:7]
	v_add_f64 v[10:11], v[10:11], v[14:15]
	v_add_f64 v[14:15], v[146:147], -v[142:143]
	v_fma_f64 v[6:7], v[12:13], s[2:3], v[4:5]
	v_fma_f64 v[4:5], v[12:13], s[8:9], v[4:5]
	v_add_f64 v[12:13], v[126:127], -v[136:137]
	v_fma_f64 v[6:7], v[8:9], s[14:15], v[6:7]
	v_fma_f64 v[4:5], v[8:9], s[4:5], v[4:5]
	v_add_f64 v[12:13], v[12:13], v[14:15]
	v_fma_f64 v[156:157], v[10:11], s[6:7], v[6:7]
	v_fma_f64 v[30:31], v[10:11], s[6:7], v[4:5]
	v_add_f64 v[4:5], v[138:139], v[126:127]
	v_add_f64 v[6:7], v[124:125], -v[144:145]
	v_add_f64 v[10:11], v[130:131], -v[140:141]
	v_add_f64 v[4:5], v[4:5], v[136:137]
	v_add_f64 v[4:5], v[4:5], v[142:143]
	;; [unrolled: 1-line block ×4, first 2 shown]
	v_fma_f64 v[4:5], v[4:5], -0.5, v[138:139]
	v_fma_f64 v[8:9], v[6:7], s[2:3], v[4:5]
	v_fma_f64 v[4:5], v[6:7], s[8:9], v[4:5]
	;; [unrolled: 1-line block ×6, first 2 shown]
	v_add_f64 v[4:5], v[126:127], v[146:147]
	v_add_f64 v[12:13], v[136:137], -v[126:127]
	v_fma_f64 v[4:5], v[4:5], -0.5, v[138:139]
	v_add_f64 v[12:13], v[12:13], v[16:17]
	v_add_f64 v[16:17], v[124:125], -v[130:131]
	v_fma_f64 v[8:9], v[10:11], s[8:9], v[4:5]
	v_fma_f64 v[4:5], v[10:11], s[2:3], v[4:5]
	v_add_f64 v[16:17], v[16:17], v[18:19]
	v_add_f64 v[18:19], v[130:131], -v[124:125]
	v_fma_f64 v[8:9], v[6:7], s[4:5], v[8:9]
	v_fma_f64 v[4:5], v[6:7], s[14:15], v[4:5]
	v_add_f64 v[18:19], v[18:19], v[20:21]
	v_add_f64 v[20:21], v[24:25], v[36:37]
	v_fma_f64 v[138:139], v[12:13], s[6:7], v[8:9]
	v_fma_f64 v[6:7], v[12:13], s[6:7], v[4:5]
	v_add_f64 v[4:5], v[88:89], v[124:125]
	v_add_f64 v[8:9], v[126:127], -v[146:147]
	v_add_f64 v[12:13], v[136:137], -v[142:143]
	v_add_f64 v[4:5], v[4:5], v[130:131]
	v_add_f64 v[4:5], v[4:5], v[140:141]
	;; [unrolled: 1-line block ×5, first 2 shown]
	v_fma_f64 v[4:5], v[4:5], -0.5, v[88:89]
	v_add_f64 v[42:43], v[42:43], -v[158:159]
	v_fma_f64 v[10:11], v[8:9], s[8:9], v[4:5]
	v_fma_f64 v[4:5], v[8:9], s[2:3], v[4:5]
	;; [unrolled: 1-line block ×6, first 2 shown]
	v_add_f64 v[4:5], v[124:125], v[144:145]
	v_fma_f64 v[4:5], v[4:5], -0.5, v[88:89]
	v_fma_f64 v[16:17], v[12:13], s[2:3], v[4:5]
	v_fma_f64 v[4:5], v[12:13], s[8:9], v[4:5]
	;; [unrolled: 1-line block ×6, first 2 shown]
	v_mul_f64 v[4:5], v[10:11], s[4:5]
	v_fma_f64 v[130:131], v[14:15], s[16:17], v[4:5]
	v_mul_f64 v[14:15], v[14:15], s[14:15]
	v_mul_f64 v[4:5], v[88:89], s[2:3]
	v_add_f64 v[16:17], v[28:29], v[130:131]
	v_fma_f64 v[144:145], v[10:11], s[16:17], v[14:15]
	v_mul_f64 v[10:11], v[138:139], s[8:9]
	v_fma_f64 v[136:137], v[138:139], s[6:7], v[4:5]
	v_mul_f64 v[4:5], v[6:7], s[18:19]
	v_add_f64 v[138:139], v[58:59], -v[66:67]
	v_add_f64 v[18:19], v[50:51], v[144:145]
	v_fma_f64 v[88:89], v[88:89], s[6:7], v[10:11]
	v_mul_f64 v[10:11], v[124:125], s[18:19]
	v_fma_f64 v[140:141], v[124:125], s[2:3], v[4:5]
	v_mul_f64 v[4:5], v[40:41], s[20:21]
	v_add_f64 v[12:13], v[32:33], v[136:137]
	v_add_f64 v[32:33], v[32:33], -v[136:137]
	v_add_f64 v[136:137], v[82:83], -v[74:75]
	v_add_f64 v[14:15], v[156:157], v[88:89]
	v_fma_f64 v[124:125], v[6:7], s[8:9], v[10:11]
	v_mul_f64 v[6:7], v[126:127], s[20:21]
	v_add_f64 v[8:9], v[38:39], v[140:141]
	v_fma_f64 v[142:143], v[126:127], s[4:5], v[4:5]
	v_add_f64 v[136:137], v[136:137], v[138:139]
	v_add_f64 v[138:139], v[74:75], -v[82:83]
	v_add_f64 v[10:11], v[30:31], v[124:125]
	v_fma_f64 v[126:127], v[40:41], s[14:15], v[6:7]
	v_add_f64 v[40:41], v[24:25], -v[36:37]
	v_add_f64 v[36:37], v[28:29], -v[130:131]
	;; [unrolled: 1-line block ×4, first 2 shown]
	v_add_f64 v[50:51], v[44:45], v[82:83]
	v_add_f64 v[4:5], v[34:35], v[142:143]
	v_add_f64 v[24:25], v[34:35], -v[142:143]
	v_add_f64 v[34:35], v[156:157], -v[88:89]
	;; [unrolled: 1-line block ×4, first 2 shown]
	v_add_f64 v[6:7], v[26:27], v[126:127]
	v_add_f64 v[26:27], v[26:27], -v[126:127]
	v_add_f64 v[50:51], v[50:51], v[74:75]
	v_add_f64 v[130:131], v[70:71], -v[62:63]
	v_add_f64 v[140:141], v[66:67], -v[58:59]
	v_add_f64 v[50:51], v[50:51], v[66:67]
	v_add_f64 v[138:139], v[138:139], v[140:141]
	;; [unrolled: 1-line block ×4, first 2 shown]
	v_add_f64 v[74:75], v[74:75], -v[66:67]
	v_add_f64 v[66:67], v[78:79], -v[70:71]
	v_fma_f64 v[50:51], v[50:51], -0.5, v[44:45]
	v_fma_f64 v[126:127], v[124:125], s[2:3], v[50:51]
	v_fma_f64 v[50:51], v[124:125], s[8:9], v[50:51]
	;; [unrolled: 1-line block ×6, first 2 shown]
	v_add_f64 v[50:51], v[82:83], v[58:59]
	v_fma_f64 v[44:45], v[50:51], -0.5, v[44:45]
	v_fma_f64 v[50:51], v[130:131], s[8:9], v[44:45]
	v_fma_f64 v[44:45], v[130:131], s[2:3], v[44:45]
	;; [unrolled: 1-line block ×6, first 2 shown]
	v_add_f64 v[44:45], v[46:47], v[78:79]
	v_add_f64 v[50:51], v[82:83], -v[58:59]
	v_add_f64 v[82:83], v[54:55], -v[62:63]
	v_add_f64 v[44:45], v[44:45], v[70:71]
	v_add_f64 v[66:67], v[66:67], v[82:83]
	v_add_f64 v[82:83], v[60:61], -v[52:53]
	v_add_f64 v[44:45], v[44:45], v[62:63]
	v_add_f64 v[130:131], v[44:45], v[54:55]
	;; [unrolled: 1-line block ×3, first 2 shown]
	v_fma_f64 v[44:45], v[44:45], -0.5, v[46:47]
	v_fma_f64 v[58:59], v[50:51], s[8:9], v[44:45]
	v_fma_f64 v[44:45], v[50:51], s[2:3], v[44:45]
	;; [unrolled: 1-line block ×6, first 2 shown]
	v_add_f64 v[44:45], v[78:79], v[54:55]
	v_add_f64 v[58:59], v[70:71], -v[78:79]
	v_add_f64 v[54:55], v[62:63], -v[54:55]
	;; [unrolled: 1-line block ×3, first 2 shown]
	v_fma_f64 v[44:45], v[44:45], -0.5, v[46:47]
	v_add_f64 v[54:55], v[58:59], v[54:55]
	v_add_f64 v[58:59], v[76:77], -v[68:69]
	v_fma_f64 v[46:47], v[74:75], s[2:3], v[44:45]
	v_fma_f64 v[44:45], v[74:75], s[8:9], v[44:45]
	v_add_f64 v[58:59], v[58:59], v[62:63]
	v_add_f64 v[62:63], v[68:69], -v[76:77]
	v_fma_f64 v[46:47], v[50:51], s[14:15], v[46:47]
	v_fma_f64 v[44:45], v[50:51], s[4:5], v[44:45]
	v_add_f64 v[62:63], v[62:63], v[82:83]
	v_fma_f64 v[142:143], v[54:55], s[6:7], v[46:47]
	v_fma_f64 v[70:71], v[54:55], s[6:7], v[44:45]
	v_add_f64 v[44:45], v[122:123], v[76:77]
	v_add_f64 v[46:47], v[72:73], -v[48:49]
	v_add_f64 v[54:55], v[64:65], -v[56:57]
	v_add_f64 v[44:45], v[44:45], v[68:69]
	v_add_f64 v[44:45], v[44:45], v[60:61]
	;; [unrolled: 1-line block ×4, first 2 shown]
	v_fma_f64 v[44:45], v[44:45], -0.5, v[122:123]
	v_fma_f64 v[50:51], v[46:47], s[2:3], v[44:45]
	v_fma_f64 v[44:45], v[46:47], s[8:9], v[44:45]
	;; [unrolled: 1-line block ×6, first 2 shown]
	v_add_f64 v[44:45], v[76:77], v[52:53]
	v_add_f64 v[52:53], v[76:77], -v[52:53]
	v_fma_f64 v[44:45], v[44:45], -0.5, v[122:123]
	v_fma_f64 v[58:59], v[54:55], s[8:9], v[44:45]
	v_fma_f64 v[44:45], v[54:55], s[2:3], v[44:45]
	;; [unrolled: 1-line block ×6, first 2 shown]
	v_add_f64 v[44:45], v[80:81], v[72:73]
	v_add_f64 v[58:59], v[68:69], -v[60:61]
	v_add_f64 v[60:61], v[72:73], -v[64:65]
	;; [unrolled: 1-line block ×3, first 2 shown]
	v_add_f64 v[44:45], v[44:45], v[64:65]
	v_add_f64 v[60:61], v[60:61], v[62:63]
	v_add_f64 v[62:63], v[64:65], -v[72:73]
	v_add_f64 v[44:45], v[44:45], v[56:57]
	v_add_f64 v[122:123], v[44:45], v[48:49]
	;; [unrolled: 1-line block ×3, first 2 shown]
	v_fma_f64 v[44:45], v[44:45], -0.5, v[80:81]
	v_fma_f64 v[54:55], v[52:53], s[8:9], v[44:45]
	v_fma_f64 v[44:45], v[52:53], s[2:3], v[44:45]
	;; [unrolled: 1-line block ×6, first 2 shown]
	v_add_f64 v[44:45], v[72:73], v[48:49]
	v_add_f64 v[48:49], v[56:57], -v[48:49]
	v_fma_f64 v[44:45], v[44:45], -0.5, v[80:81]
	v_add_f64 v[48:49], v[62:63], v[48:49]
	v_add_f64 v[80:81], v[88:89], -v[74:75]
	v_add_f64 v[62:63], v[130:131], v[122:123]
	v_fma_f64 v[60:61], v[58:59], s[2:3], v[44:45]
	v_fma_f64 v[44:45], v[58:59], s[8:9], v[44:45]
	;; [unrolled: 1-line block ×6, first 2 shown]
	v_add_f64 v[60:61], v[88:89], v[74:75]
	v_mul_f64 v[44:45], v[54:55], s[4:5]
	v_add_f64 v[88:89], v[0:1], v[110:111]
	v_fma_f64 v[76:77], v[50:51], s[16:17], v[44:45]
	v_mul_f64 v[44:45], v[64:65], s[2:3]
	v_mul_f64 v[50:51], v[50:51], s[14:15]
	v_add_f64 v[88:89], v[88:89], v[112:113]
	v_add_f64 v[56:57], v[126:127], v[76:77]
	v_fma_f64 v[144:145], v[82:83], s[6:7], v[44:45]
	v_mul_f64 v[44:45], v[46:47], s[18:19]
	v_fma_f64 v[158:159], v[54:55], s[16:17], v[50:51]
	v_mul_f64 v[50:51], v[82:83], s[8:9]
	v_add_f64 v[88:89], v[88:89], v[118:119]
	v_add_f64 v[82:83], v[130:131], -v[122:123]
	v_add_f64 v[76:77], v[126:127], -v[76:77]
	;; [unrolled: 1-line block ×3, first 2 shown]
	v_add_f64 v[52:53], v[140:141], v[144:145]
	v_fma_f64 v[146:147], v[72:73], s[2:3], v[44:45]
	v_mul_f64 v[44:45], v[78:79], s[20:21]
	v_fma_f64 v[160:161], v[64:65], s[6:7], v[50:51]
	v_mul_f64 v[50:51], v[72:73], s[18:19]
	v_add_f64 v[122:123], v[88:89], v[166:167]
	v_add_f64 v[88:89], v[112:113], v[118:119]
	;; [unrolled: 1-line block ×3, first 2 shown]
	v_add_f64 v[72:73], v[140:141], -v[144:145]
	v_add_f64 v[48:49], v[124:125], v[146:147]
	v_fma_f64 v[156:157], v[68:69], s[4:5], v[44:45]
	v_add_f64 v[140:141], v[118:119], -v[166:167]
	v_fma_f64 v[162:163], v[46:47], s[8:9], v[50:51]
	v_mul_f64 v[46:47], v[68:69], s[20:21]
	v_add_f64 v[68:69], v[124:125], -v[146:147]
	v_fma_f64 v[88:89], v[88:89], -0.5, v[0:1]
	v_add_f64 v[124:125], v[106:107], -v[116:117]
	v_add_f64 v[54:55], v[142:143], v[160:161]
	v_add_f64 v[44:45], v[136:137], v[156:157]
	v_add_f64 v[64:65], v[136:137], -v[156:157]
	v_add_f64 v[136:137], v[110:111], -v[112:113]
	v_fma_f64 v[164:165], v[78:79], s[14:15], v[46:47]
	v_add_f64 v[78:79], v[138:139], -v[158:159]
	v_add_f64 v[138:139], v[166:167], -v[118:119]
	v_fma_f64 v[126:127], v[124:125], s[2:3], v[88:89]
	v_fma_f64 v[88:89], v[124:125], s[8:9], v[88:89]
	v_add_f64 v[74:75], v[142:143], -v[160:161]
	v_add_f64 v[142:143], v[100:101], -v[104:105]
	v_add_f64 v[50:51], v[70:71], v[162:163]
	v_add_f64 v[70:71], v[70:71], -v[162:163]
	v_add_f64 v[46:47], v[66:67], v[164:165]
	v_add_f64 v[136:137], v[136:137], v[138:139]
	v_fma_f64 v[126:127], v[130:131], s[4:5], v[126:127]
	v_fma_f64 v[88:89], v[130:131], s[14:15], v[88:89]
	v_add_f64 v[138:139], v[112:113], -v[110:111]
	v_add_f64 v[112:113], v[112:113], -v[118:119]
	;; [unrolled: 1-line block ×4, first 2 shown]
	v_fma_f64 v[126:127], v[136:137], s[6:7], v[126:127]
	v_fma_f64 v[136:137], v[136:137], s[6:7], v[88:89]
	v_add_f64 v[88:89], v[110:111], v[166:167]
	v_add_f64 v[138:139], v[138:139], v[140:141]
	v_fma_f64 v[0:1], v[88:89], -0.5, v[0:1]
	v_fma_f64 v[88:89], v[130:131], s[8:9], v[0:1]
	v_fma_f64 v[0:1], v[130:131], s[2:3], v[0:1]
	;; [unrolled: 1-line block ×6, first 2 shown]
	v_add_f64 v[0:1], v[2:3], v[106:107]
	v_add_f64 v[88:89], v[110:111], -v[166:167]
	v_add_f64 v[138:139], v[116:117], -v[114:115]
	v_add_f64 v[0:1], v[0:1], v[108:109]
	v_add_f64 v[118:119], v[118:119], v[138:139]
	v_add_f64 v[138:139], v[104:105], -v[100:101]
	v_add_f64 v[0:1], v[0:1], v[114:115]
	v_add_f64 v[130:131], v[0:1], v[116:117]
	;; [unrolled: 1-line block ×3, first 2 shown]
	v_fma_f64 v[0:1], v[0:1], -0.5, v[2:3]
	v_fma_f64 v[110:111], v[88:89], s[8:9], v[0:1]
	v_fma_f64 v[0:1], v[88:89], s[2:3], v[0:1]
	;; [unrolled: 1-line block ×6, first 2 shown]
	v_add_f64 v[118:119], v[106:107], v[116:117]
	v_add_f64 v[106:107], v[108:109], -v[106:107]
	v_add_f64 v[108:109], v[114:115], -v[116:117]
	;; [unrolled: 1-line block ×3, first 2 shown]
	v_fma_f64 v[2:3], v[118:119], -0.5, v[2:3]
	v_add_f64 v[106:107], v[106:107], v[108:109]
	v_add_f64 v[108:109], v[86:87], -v[102:103]
	v_fma_f64 v[118:119], v[112:113], s[2:3], v[2:3]
	v_fma_f64 v[2:3], v[112:113], s[8:9], v[2:3]
	;; [unrolled: 1-line block ×4, first 2 shown]
	v_add_f64 v[88:89], v[98:99], v[90:91]
	v_fma_f64 v[114:115], v[106:107], s[6:7], v[118:119]
	v_fma_f64 v[2:3], v[106:107], s[6:7], v[2:3]
	v_add_f64 v[88:89], v[88:89], v[94:95]
	v_add_f64 v[118:119], v[90:91], -v[94:95]
	v_add_f64 v[88:89], v[88:89], v[100:101]
	v_add_f64 v[118:119], v[118:119], v[138:139]
	v_add_f64 v[138:139], v[94:95], -v[90:91]
	v_add_f64 v[106:107], v[88:89], v[104:105]
	v_add_f64 v[88:89], v[94:95], v[100:101]
	v_add_f64 v[138:139], v[138:139], v[142:143]
	v_add_f64 v[94:95], v[94:95], -v[100:101]
	v_fma_f64 v[88:89], v[88:89], -0.5, v[98:99]
	v_fma_f64 v[112:113], v[108:109], s[2:3], v[88:89]
	v_fma_f64 v[88:89], v[108:109], s[8:9], v[88:89]
	;; [unrolled: 1-line block ×6, first 2 shown]
	v_add_f64 v[88:89], v[90:91], v[104:105]
	v_add_f64 v[90:91], v[90:91], -v[104:105]
	v_fma_f64 v[88:89], v[88:89], -0.5, v[98:99]
	v_fma_f64 v[98:99], v[116:117], s[8:9], v[88:89]
	v_fma_f64 v[88:89], v[116:117], s[2:3], v[88:89]
	v_add_f64 v[116:117], v[102:103], -v[96:97]
	v_fma_f64 v[98:99], v[108:109], s[4:5], v[98:99]
	v_fma_f64 v[88:89], v[108:109], s[14:15], v[88:89]
	;; [unrolled: 1-line block ×4, first 2 shown]
	v_add_f64 v[88:89], v[84:85], v[86:87]
	v_add_f64 v[88:89], v[88:89], v[92:93]
	;; [unrolled: 1-line block ×5, first 2 shown]
	v_fma_f64 v[88:89], v[88:89], -0.5, v[84:85]
	v_fma_f64 v[104:105], v[90:91], s[8:9], v[88:89]
	v_fma_f64 v[88:89], v[90:91], s[2:3], v[88:89]
	;; [unrolled: 1-line block ×3, first 2 shown]
	v_add_f64 v[104:105], v[86:87], -v[92:93]
	v_fma_f64 v[88:89], v[94:95], s[4:5], v[88:89]
	v_add_f64 v[104:105], v[104:105], v[116:117]
	v_fma_f64 v[116:117], v[104:105], s[6:7], v[100:101]
	v_fma_f64 v[104:105], v[104:105], s[6:7], v[88:89]
	v_add_f64 v[88:89], v[86:87], v[102:103]
	v_add_f64 v[86:87], v[92:93], -v[86:87]
	v_add_f64 v[92:93], v[96:97], -v[102:103]
	v_fma_f64 v[84:85], v[88:89], -0.5, v[84:85]
	v_add_f64 v[86:87], v[86:87], v[92:93]
	v_fma_f64 v[88:89], v[94:95], s[2:3], v[84:85]
	v_fma_f64 v[84:85], v[94:95], s[8:9], v[84:85]
	v_mul_f64 v[94:95], v[98:99], s[8:9]
	v_fma_f64 v[88:89], v[90:91], s[14:15], v[88:89]
	v_fma_f64 v[84:85], v[90:91], s[4:5], v[84:85]
	v_mul_f64 v[90:91], v[112:113], s[14:15]
	;; [unrolled: 3-line block ×3, first 2 shown]
	v_fma_f64 v[160:161], v[116:117], s[16:17], v[90:91]
	v_add_f64 v[84:85], v[122:123], v[106:107]
	v_fma_f64 v[162:163], v[102:103], s[6:7], v[94:95]
	v_fma_f64 v[144:145], v[112:113], s[16:17], v[86:87]
	v_mul_f64 v[86:87], v[102:103], s[2:3]
	v_mul_f64 v[102:103], v[104:105], s[20:21]
	v_add_f64 v[90:91], v[110:111], v[160:161]
	v_add_f64 v[110:111], v[110:111], -v[160:161]
	v_add_f64 v[94:95], v[114:115], v[162:163]
	v_add_f64 v[114:115], v[114:115], -v[162:163]
	v_add_f64 v[88:89], v[126:127], v[144:145]
	v_fma_f64 v[146:147], v[98:99], s[6:7], v[86:87]
	v_mul_f64 v[86:87], v[108:109], s[18:19]
	v_mul_f64 v[98:99], v[142:143], s[18:19]
	v_fma_f64 v[164:165], v[118:119], s[14:15], v[102:103]
	v_add_f64 v[92:93], v[140:141], v[146:147]
	v_fma_f64 v[156:157], v[142:143], s[2:3], v[86:87]
	v_mul_f64 v[86:87], v[118:119], s[20:21]
	v_fma_f64 v[142:143], v[108:109], s[8:9], v[98:99]
	v_add_f64 v[102:103], v[0:1], v[164:165]
	v_add_f64 v[108:109], v[126:127], -v[144:145]
	v_add_f64 v[126:127], v[0:1], -v[164:165]
	v_mul_u32_u24_e32 v0, 0x12c, v151
	v_add_lshl_u32 v145, v0, v152, 4
	v_add_f64 v[96:97], v[124:125], v[156:157]
	v_fma_f64 v[158:159], v[104:105], s[4:5], v[86:87]
	v_add_f64 v[86:87], v[130:131], v[138:139]
	v_add_f64 v[98:99], v[2:3], v[142:143]
	v_add_f64 v[104:105], v[122:123], -v[106:107]
	v_add_f64 v[106:107], v[130:131], -v[138:139]
	v_mul_u32_u24_e32 v0, 0x12c, v168
	v_add_lshl_u32 v123, v0, v121, 4
	v_mad_legacy_u16 v0, v169, s29, v150
	v_add_f64 v[100:101], v[136:137], v[158:159]
	v_add_f64 v[112:113], v[140:141], -v[146:147]
	v_add_f64 v[116:117], v[124:125], -v[156:157]
	v_add_f64 v[124:125], v[136:137], -v[158:159]
	v_lshlrev_b32_e32 v136, 4, v0
	v_add_f64 v[118:119], v[2:3], -v[142:143]
	ds_write_b128 v145, v[20:23]
	ds_write_b128 v145, v[16:19] offset:480
	ds_write_b128 v145, v[12:15] offset:960
	ds_write_b128 v145, v[8:11] offset:1440
	ds_write_b128 v145, v[4:7] offset:1920
	ds_write_b128 v145, v[40:43] offset:2400
	ds_write_b128 v145, v[36:39] offset:2880
	ds_write_b128 v145, v[32:35] offset:3360
	ds_write_b128 v145, v[28:31] offset:3840
	ds_write_b128 v145, v[24:27] offset:4320
	ds_write_b128 v123, v[60:63]
	ds_write_b128 v123, v[56:59] offset:480
	ds_write_b128 v123, v[52:55] offset:960
	ds_write_b128 v123, v[48:51] offset:1440
	ds_write_b128 v123, v[44:47] offset:1920
	ds_write_b128 v123, v[80:83] offset:2400
	ds_write_b128 v123, v[76:79] offset:2880
	ds_write_b128 v123, v[72:75] offset:3360
	ds_write_b128 v123, v[68:71] offset:3840
	ds_write_b128 v123, v[64:67] offset:4320
	;; [unrolled: 10-line block ×3, first 2 shown]
	v_mad_u64_u32 v[116:117], s[10:11], v176, s30, v[128:129]
	s_movk_i32 s10, 0x1220
	s_waitcnt lgkmcnt(0)
	v_add_co_u32_e32 v96, vcc, s10, v116
	v_addc_co_u32_e32 v97, vcc, 0, v117, vcc
	v_add_co_u32_e32 v121, vcc, s28, v116
	v_addc_co_u32_e32 v122, vcc, 0, v117, vcc
	s_barrier
	ds_read_b128 v[8:11], v120
	ds_read_b128 v[0:3], v120 offset:4800
	ds_read_b128 v[4:7], v120 offset:9600
	;; [unrolled: 1-line block ×29, first 2 shown]
	global_load_dwordx4 v[128:131], v[121:122], off offset:544
	global_load_dwordx4 v[132:135], v[96:97], off offset:48
	;; [unrolled: 1-line block ×4, first 2 shown]
	s_movk_i32 s10, 0x1260
	s_waitcnt vmcnt(3) lgkmcnt(14)
	v_mul_f64 v[96:97], v[2:3], v[130:131]
	v_fma_f64 v[126:127], v[0:1], v[128:129], -v[96:97]
	buffer_store_dword v128, off, s[36:39], 0 offset:1172 ; 4-byte Folded Spill
	s_nop 0
	buffer_store_dword v129, off, s[36:39], 0 offset:1176 ; 4-byte Folded Spill
	buffer_store_dword v130, off, s[36:39], 0 offset:1180 ; 4-byte Folded Spill
	;; [unrolled: 1-line block ×3, first 2 shown]
	s_waitcnt vmcnt(4)
	buffer_store_dword v108, off, s[36:39], 0 offset:1188 ; 4-byte Folded Spill
	s_nop 0
	buffer_store_dword v109, off, s[36:39], 0 offset:1192 ; 4-byte Folded Spill
	buffer_store_dword v110, off, s[36:39], 0 offset:1196 ; 4-byte Folded Spill
	;; [unrolled: 1-line block ×3, first 2 shown]
	v_mul_f64 v[0:1], v[0:1], v[130:131]
	v_fma_f64 v[118:119], v[2:3], v[128:129], v[0:1]
	v_mul_f64 v[0:1], v[6:7], v[110:111]
	v_fma_f64 v[102:103], v[4:5], v[108:109], -v[0:1]
	v_mul_f64 v[0:1], v[4:5], v[110:111]
	v_mov_b32_e32 v2, v98
	v_mov_b32_e32 v3, v99
	;; [unrolled: 1-line block ×4, first 2 shown]
	buffer_store_dword v2, off, s[36:39], 0 offset:1156 ; 4-byte Folded Spill
	s_nop 0
	buffer_store_dword v3, off, s[36:39], 0 offset:1160 ; 4-byte Folded Spill
	buffer_store_dword v4, off, s[36:39], 0 offset:1164 ; 4-byte Folded Spill
	;; [unrolled: 1-line block ×4, first 2 shown]
	s_nop 0
	buffer_store_dword v133, off, s[36:39], 0 offset:1144 ; 4-byte Folded Spill
	buffer_store_dword v134, off, s[36:39], 0 offset:1148 ; 4-byte Folded Spill
	;; [unrolled: 1-line block ×3, first 2 shown]
	v_fma_f64 v[130:131], v[6:7], v[108:109], v[0:1]
	v_mul_f64 v[0:1], v[90:91], v[4:5]
	v_fma_f64 v[100:101], v[88:89], v[2:3], -v[0:1]
	v_mul_f64 v[0:1], v[88:89], v[4:5]
	v_fma_f64 v[108:109], v[90:91], v[2:3], v[0:1]
	global_load_dwordx4 v[2:5], v[121:122], off offset:608
	v_mul_f64 v[0:1], v[94:95], v[134:135]
	s_waitcnt vmcnt(0)
	buffer_store_dword v2, off, s[36:39], 0 offset:1252 ; 4-byte Folded Spill
	s_nop 0
	buffer_store_dword v3, off, s[36:39], 0 offset:1256 ; 4-byte Folded Spill
	buffer_store_dword v4, off, s[36:39], 0 offset:1260 ; 4-byte Folded Spill
	;; [unrolled: 1-line block ×3, first 2 shown]
	v_fma_f64 v[98:99], v[92:93], v[132:133], -v[0:1]
	v_mul_f64 v[0:1], v[92:93], v[134:135]
	v_add_f64 v[146:147], v[102:103], -v[98:99]
	v_fma_f64 v[6:7], v[94:95], v[132:133], v[0:1]
	v_add_co_u32_e32 v0, vcc, s10, v116
	v_addc_co_u32_e32 v1, vcc, 0, v117, vcc
	global_load_dwordx4 v[88:91], v[0:1], off offset:48
	s_waitcnt vmcnt(0)
	buffer_store_dword v88, off, s[36:39], 0 offset:1204 ; 4-byte Folded Spill
	s_nop 0
	buffer_store_dword v89, off, s[36:39], 0 offset:1208 ; 4-byte Folded Spill
	buffer_store_dword v90, off, s[36:39], 0 offset:1212 ; 4-byte Folded Spill
	buffer_store_dword v91, off, s[36:39], 0 offset:1216 ; 4-byte Folded Spill
	global_load_dwordx4 v[132:135], v[0:1], off offset:32
	s_waitcnt vmcnt(0)
	buffer_store_dword v132, off, s[36:39], 0 offset:1220 ; 4-byte Folded Spill
	s_nop 0
	buffer_store_dword v133, off, s[36:39], 0 offset:1224 ; 4-byte Folded Spill
	buffer_store_dword v134, off, s[36:39], 0 offset:1228 ; 4-byte Folded Spill
	buffer_store_dword v135, off, s[36:39], 0 offset:1232 ; 4-byte Folded Spill
	;; [unrolled: 7-line block ×3, first 2 shown]
	v_mul_f64 v[0:1], v[139:140], v[4:5]
	s_movk_i32 s10, 0x4a60
	v_fma_f64 v[94:95], v[137:138], v[2:3], -v[0:1]
	v_mul_f64 v[0:1], v[137:138], v[4:5]
	v_fma_f64 v[96:97], v[139:140], v[2:3], v[0:1]
	v_mul_f64 v[2:3], v[160:161], v[90:91]
	v_fma_f64 v[2:3], v[162:163], v[88:89], v[2:3]
	v_mul_f64 v[0:1], v[143:144], v[166:167]
	v_fma_f64 v[110:111], v[141:142], v[164:165], -v[0:1]
	v_mul_f64 v[0:1], v[141:142], v[166:167]
	v_fma_f64 v[4:5], v[143:144], v[164:165], v[0:1]
	v_mul_f64 v[0:1], v[158:159], v[134:135]
	v_fma_f64 v[124:125], v[156:157], v[132:133], -v[0:1]
	v_mul_f64 v[0:1], v[156:157], v[134:135]
	v_fma_f64 v[92:93], v[158:159], v[132:133], v[0:1]
	global_load_dwordx4 v[132:135], v[121:122], off offset:672
	s_waitcnt vmcnt(0)
	buffer_store_dword v132, off, s[36:39], 0 offset:1332 ; 4-byte Folded Spill
	s_nop 0
	buffer_store_dword v133, off, s[36:39], 0 offset:1336 ; 4-byte Folded Spill
	buffer_store_dword v134, off, s[36:39], 0 offset:1340 ; 4-byte Folded Spill
	;; [unrolled: 1-line block ×3, first 2 shown]
	v_mul_f64 v[0:1], v[162:163], v[90:91]
	v_fma_f64 v[0:1], v[160:161], v[88:89], -v[0:1]
	v_add_f64 v[150:151], v[0:1], -v[110:111]
	v_add_f64 v[252:253], v[110:111], -v[0:1]
	v_add_f64 v[146:147], v[146:147], v[150:151]
	v_add_f64 v[150:151], v[98:99], -v[102:103]
	v_add_f64 v[150:151], v[150:151], v[252:253]
	v_mul_f64 v[88:89], v[86:87], v[134:135]
	v_fma_f64 v[88:89], v[84:85], v[132:133], -v[88:89]
	v_mul_f64 v[84:85], v[84:85], v[134:135]
	v_add_f64 v[252:253], v[124:125], -v[88:89]
	v_fma_f64 v[90:91], v[86:87], v[132:133], v[84:85]
	v_add_co_u32_e32 v84, vcc, s10, v116
	v_addc_co_u32_e32 v85, vcc, 0, v117, vcc
	v_add_co_u32_e32 v86, vcc, s27, v116
	v_addc_co_u32_e32 v87, vcc, 0, v117, vcc
	global_load_dwordx4 v[228:231], v[86:87], off offset:2656
	global_load_dwordx4 v[244:247], v[84:85], off offset:48
	;; [unrolled: 1-line block ×4, first 2 shown]
	s_movk_i32 s10, 0x4aa0
	s_waitcnt vmcnt(3)
	v_mul_f64 v[84:85], v[82:83], v[230:231]
	v_fma_f64 v[132:133], v[80:81], v[228:229], -v[84:85]
	v_mul_f64 v[80:81], v[80:81], v[230:231]
	v_fma_f64 v[80:81], v[82:83], v[228:229], v[80:81]
	s_waitcnt vmcnt(0)
	v_mul_f64 v[82:83], v[78:79], v[234:235]
	v_fma_f64 v[82:83], v[76:77], v[232:233], -v[82:83]
	v_mul_f64 v[76:77], v[76:77], v[234:235]
	v_fma_f64 v[78:79], v[78:79], v[232:233], v[76:77]
	v_mul_f64 v[76:77], v[74:75], v[242:243]
	v_fma_f64 v[76:77], v[72:73], v[240:241], -v[76:77]
	v_mul_f64 v[72:73], v[72:73], v[242:243]
	v_fma_f64 v[72:73], v[74:75], v[240:241], v[72:73]
	;; [unrolled: 4-line block ×3, first 2 shown]
	v_add_co_u32_e32 v68, vcc, s10, v116
	v_addc_co_u32_e32 v69, vcc, 0, v117, vcc
	global_load_dwordx4 v[212:215], v[86:87], off offset:2720
	global_load_dwordx4 v[224:227], v[68:69], off offset:48
	;; [unrolled: 1-line block ×5, first 2 shown]
	s_mov_b32 s10, 0x82a0
	s_waitcnt vmcnt(4)
	v_mul_f64 v[68:69], v[66:67], v[214:215]
	v_fma_f64 v[68:69], v[64:65], v[212:213], -v[68:69]
	v_mul_f64 v[64:65], v[64:65], v[214:215]
	v_fma_f64 v[64:65], v[66:67], v[212:213], v[64:65]
	s_waitcnt vmcnt(1) lgkmcnt(13)
	v_mul_f64 v[66:67], v[62:63], v[218:219]
	v_fma_f64 v[66:67], v[60:61], v[216:217], -v[66:67]
	v_mul_f64 v[60:61], v[60:61], v[218:219]
	v_fma_f64 v[62:63], v[62:63], v[216:217], v[60:61]
	s_waitcnt lgkmcnt(12)
	v_mul_f64 v[60:61], v[58:59], v[222:223]
	v_fma_f64 v[60:61], v[56:57], v[220:221], -v[60:61]
	v_mul_f64 v[56:57], v[56:57], v[222:223]
	v_fma_f64 v[56:57], v[58:59], v[220:221], v[56:57]
	s_waitcnt lgkmcnt(11)
	v_mul_f64 v[58:59], v[54:55], v[226:227]
	v_fma_f64 v[58:59], v[52:53], v[224:225], -v[58:59]
	v_mul_f64 v[52:53], v[52:53], v[226:227]
	v_fma_f64 v[54:55], v[54:55], v[224:225], v[52:53]
	s_waitcnt vmcnt(0) lgkmcnt(10)
	v_mul_f64 v[52:53], v[50:51], v[210:211]
	v_fma_f64 v[52:53], v[48:49], v[208:209], -v[52:53]
	v_mul_f64 v[48:49], v[48:49], v[210:211]
	v_fma_f64 v[48:49], v[50:51], v[208:209], v[48:49]
	v_add_co_u32_e32 v50, vcc, s10, v116
	v_addc_co_u32_e32 v51, vcc, 0, v117, vcc
	v_add_co_u32_e32 v137, vcc, s26, v116
	v_addc_co_u32_e32 v138, vcc, 0, v117, vcc
	global_load_dwordx4 v[192:195], v[137:138], off offset:672
	global_load_dwordx4 v[204:207], v[50:51], off offset:48
	;; [unrolled: 1-line block ×4, first 2 shown]
	s_mov_b32 s10, 0x82e0
	s_waitcnt vmcnt(3) lgkmcnt(8)
	v_mul_f64 v[50:51], v[46:47], v[194:195]
	v_fma_f64 v[139:140], v[44:45], v[192:193], -v[50:51]
	v_mul_f64 v[44:45], v[44:45], v[194:195]
	v_fma_f64 v[141:142], v[46:47], v[192:193], v[44:45]
	s_waitcnt vmcnt(0) lgkmcnt(7)
	v_mul_f64 v[44:45], v[42:43], v[198:199]
	v_fma_f64 v[44:45], v[40:41], v[196:197], -v[44:45]
	v_mul_f64 v[40:41], v[40:41], v[198:199]
	v_fma_f64 v[40:41], v[42:43], v[196:197], v[40:41]
	s_waitcnt lgkmcnt(6)
	v_mul_f64 v[42:43], v[38:39], v[202:203]
	v_fma_f64 v[86:87], v[36:37], v[200:201], -v[42:43]
	v_mul_f64 v[36:37], v[36:37], v[202:203]
	v_fma_f64 v[128:129], v[38:39], v[200:201], v[36:37]
	s_waitcnt lgkmcnt(5)
	v_mul_f64 v[36:37], v[34:35], v[206:207]
	v_fma_f64 v[121:122], v[32:33], v[204:205], -v[36:37]
	v_mul_f64 v[32:33], v[32:33], v[206:207]
	v_fma_f64 v[34:35], v[34:35], v[204:205], v[32:33]
	v_add_co_u32_e32 v32, vcc, s10, v116
	v_addc_co_u32_e32 v33, vcc, 0, v117, vcc
	global_load_dwordx4 v[176:179], v[137:138], off offset:736
	global_load_dwordx4 v[188:191], v[32:33], off offset:48
	;; [unrolled: 1-line block ×5, first 2 shown]
	s_mov_b32 s10, 0xbb80
	s_waitcnt vmcnt(4) lgkmcnt(4)
	v_mul_f64 v[32:33], v[30:31], v[178:179]
	v_fma_f64 v[46:47], v[28:29], v[176:177], -v[32:33]
	v_mul_f64 v[28:29], v[28:29], v[178:179]
	v_fma_f64 v[84:85], v[30:31], v[176:177], v[28:29]
	s_waitcnt vmcnt(1) lgkmcnt(3)
	v_mul_f64 v[30:31], v[26:27], v[182:183]
	v_fma_f64 v[116:117], v[24:25], v[180:181], -v[30:31]
	v_mul_f64 v[24:25], v[24:25], v[182:183]
	v_fma_f64 v[30:31], v[26:27], v[180:181], v[24:25]
	s_waitcnt lgkmcnt(2)
	v_mul_f64 v[24:25], v[22:23], v[186:187]
	v_fma_f64 v[32:33], v[20:21], v[184:185], -v[24:25]
	v_mul_f64 v[20:21], v[20:21], v[186:187]
	v_fma_f64 v[42:43], v[22:23], v[184:185], v[20:21]
	s_waitcnt lgkmcnt(1)
	v_mul_f64 v[20:21], v[18:19], v[190:191]
	v_add_f64 v[22:23], v[6:7], -v[4:5]
	v_fma_f64 v[50:51], v[16:17], v[188:189], -v[20:21]
	v_mul_f64 v[16:17], v[16:17], v[190:191]
	v_fma_f64 v[28:29], v[18:19], v[188:189], v[16:17]
	s_waitcnt vmcnt(0) lgkmcnt(0)
	v_mul_f64 v[16:17], v[14:15], v[174:175]
	v_fma_f64 v[36:37], v[12:13], v[172:173], -v[16:17]
	v_mul_f64 v[12:13], v[12:13], v[174:175]
	v_add_f64 v[16:17], v[130:131], -v[2:3]
	v_fma_f64 v[38:39], v[14:15], v[172:173], v[12:13]
	v_add_f64 v[14:15], v[98:99], v[110:111]
	v_add_f64 v[12:13], v[8:9], v[102:103]
	v_fma_f64 v[14:15], v[14:15], -0.5, v[8:9]
	v_add_f64 v[12:13], v[12:13], v[98:99]
	v_add_f64 v[98:99], v[98:99], -v[110:111]
	v_fma_f64 v[18:19], v[16:17], s[2:3], v[14:15]
	v_fma_f64 v[14:15], v[16:17], s[8:9], v[14:15]
	v_add_f64 v[12:13], v[12:13], v[110:111]
	v_add_f64 v[110:111], v[2:3], -v[4:5]
	v_fma_f64 v[18:19], v[22:23], s[4:5], v[18:19]
	v_fma_f64 v[14:15], v[22:23], s[14:15], v[14:15]
	v_add_f64 v[12:13], v[12:13], v[0:1]
	v_fma_f64 v[18:19], v[146:147], s[6:7], v[18:19]
	v_fma_f64 v[14:15], v[146:147], s[6:7], v[14:15]
	v_add_f64 v[146:147], v[102:103], v[0:1]
	v_fma_f64 v[8:9], v[146:147], -0.5, v[8:9]
	v_fma_f64 v[146:147], v[22:23], s[8:9], v[8:9]
	v_fma_f64 v[8:9], v[22:23], s[2:3], v[8:9]
	;; [unrolled: 1-line block ×4, first 2 shown]
	v_add_f64 v[16:17], v[102:103], -v[0:1]
	v_add_f64 v[102:103], v[130:131], -v[6:7]
	v_fma_f64 v[146:147], v[150:151], s[6:7], v[146:147]
	v_fma_f64 v[22:23], v[150:151], s[6:7], v[8:9]
	v_add_f64 v[8:9], v[10:11], v[130:131]
	v_add_f64 v[102:103], v[102:103], v[110:111]
	v_add_f64 v[8:9], v[8:9], v[6:7]
	v_add_f64 v[8:9], v[8:9], v[4:5]
	v_add_f64 v[150:151], v[8:9], v[2:3]
	v_add_f64 v[8:9], v[6:7], v[4:5]
	v_add_f64 v[6:7], v[6:7], -v[130:131]
	v_fma_f64 v[8:9], v[8:9], -0.5, v[10:11]
	v_fma_f64 v[0:1], v[16:17], s[8:9], v[8:9]
	v_fma_f64 v[0:1], v[98:99], s[14:15], v[0:1]
	v_fma_f64 v[110:111], v[102:103], s[6:7], v[0:1]
	v_fma_f64 v[0:1], v[16:17], s[2:3], v[8:9]
	v_add_f64 v[8:9], v[130:131], v[2:3]
	v_add_f64 v[2:3], v[4:5], -v[2:3]
	v_add_f64 v[130:131], v[88:89], -v[124:125]
	v_fma_f64 v[0:1], v[98:99], s[4:5], v[0:1]
	v_fma_f64 v[8:9], v[8:9], -0.5, v[10:11]
	v_add_f64 v[2:3], v[6:7], v[2:3]
	v_fma_f64 v[26:27], v[102:103], s[6:7], v[0:1]
	v_fma_f64 v[10:11], v[98:99], s[2:3], v[8:9]
	;; [unrolled: 1-line block ×3, first 2 shown]
	v_add_f64 v[8:9], v[94:95], v[124:125]
	v_add_f64 v[98:99], v[96:97], -v[92:93]
	v_add_f64 v[102:103], v[100:101], -v[94:95]
	v_fma_f64 v[10:11], v[16:17], s[14:15], v[10:11]
	v_fma_f64 v[4:5], v[16:17], s[4:5], v[4:5]
	v_fma_f64 v[8:9], v[8:9], -0.5, v[126:127]
	v_add_f64 v[102:103], v[102:103], v[130:131]
	v_add_f64 v[130:131], v[94:95], -v[100:101]
	v_fma_f64 v[20:21], v[2:3], s[6:7], v[10:11]
	v_add_f64 v[10:11], v[108:109], -v[90:91]
	v_fma_f64 v[24:25], v[2:3], s[6:7], v[4:5]
	v_add_f64 v[4:5], v[126:127], v[100:101]
	v_add_f64 v[130:131], v[130:131], v[252:253]
	v_fma_f64 v[16:17], v[10:11], s[2:3], v[8:9]
	v_fma_f64 v[8:9], v[10:11], s[8:9], v[8:9]
	v_add_f64 v[4:5], v[4:5], v[94:95]
	v_add_f64 v[94:95], v[94:95], -v[124:125]
	v_fma_f64 v[16:17], v[98:99], s[4:5], v[16:17]
	v_fma_f64 v[8:9], v[98:99], s[14:15], v[8:9]
	v_add_f64 v[4:5], v[4:5], v[124:125]
	v_add_f64 v[124:125], v[90:91], -v[92:93]
	v_fma_f64 v[16:17], v[102:103], s[6:7], v[16:17]
	v_fma_f64 v[8:9], v[102:103], s[6:7], v[8:9]
	v_add_f64 v[102:103], v[100:101], v[88:89]
	v_add_f64 v[4:5], v[4:5], v[88:89]
	v_add_f64 v[88:89], v[100:101], -v[88:89]
	v_fma_f64 v[102:103], v[102:103], -0.5, v[126:127]
	v_fma_f64 v[126:127], v[98:99], s[8:9], v[102:103]
	v_fma_f64 v[98:99], v[98:99], s[2:3], v[102:103]
	v_add_f64 v[102:103], v[108:109], -v[96:97]
	v_fma_f64 v[126:127], v[10:11], s[4:5], v[126:127]
	v_fma_f64 v[10:11], v[10:11], s[14:15], v[98:99]
	v_add_f64 v[98:99], v[118:119], v[108:109]
	v_add_f64 v[102:103], v[102:103], v[124:125]
	v_fma_f64 v[126:127], v[130:131], s[6:7], v[126:127]
	v_fma_f64 v[10:11], v[130:131], s[6:7], v[10:11]
	v_add_f64 v[98:99], v[98:99], v[96:97]
	v_add_f64 v[98:99], v[98:99], v[92:93]
	;; [unrolled: 1-line block ×4, first 2 shown]
	v_add_f64 v[96:97], v[96:97], -v[108:109]
	v_fma_f64 v[98:99], v[98:99], -0.5, v[118:119]
	v_fma_f64 v[100:101], v[88:89], s[8:9], v[98:99]
	v_fma_f64 v[98:99], v[88:89], s[2:3], v[98:99]
	;; [unrolled: 1-line block ×6, first 2 shown]
	v_add_f64 v[98:99], v[108:109], v[90:91]
	v_add_f64 v[90:91], v[92:93], -v[90:91]
	v_fma_f64 v[98:99], v[98:99], -0.5, v[118:119]
	v_add_f64 v[90:91], v[96:97], v[90:91]
	v_add_f64 v[96:97], v[12:13], v[4:5]
	v_fma_f64 v[100:101], v[94:95], s[2:3], v[98:99]
	v_fma_f64 v[92:93], v[94:95], s[8:9], v[98:99]
	v_mul_f64 v[94:95], v[8:9], s[20:21]
	v_add_f64 v[98:99], v[150:151], v[130:131]
	v_fma_f64 v[100:101], v[88:89], s[14:15], v[100:101]
	v_fma_f64 v[88:89], v[88:89], s[4:5], v[92:93]
	;; [unrolled: 1-line block ×5, first 2 shown]
	v_mul_f64 v[88:89], v[252:253], s[4:5]
	v_add_f64 v[124:125], v[14:15], v[0:1]
	v_fma_f64 v[118:119], v[16:17], s[16:17], v[88:89]
	v_mul_f64 v[16:17], v[16:17], s[14:15]
	v_mul_f64 v[88:89], v[108:109], s[2:3]
	v_add_f64 v[100:101], v[18:19], v[118:119]
	v_fma_f64 v[137:138], v[252:253], s[16:17], v[16:17]
	v_mul_f64 v[16:17], v[126:127], s[8:9]
	v_fma_f64 v[2:3], v[126:127], s[6:7], v[88:89]
	v_mul_f64 v[88:89], v[10:11], s[18:19]
	v_add_f64 v[102:103], v[110:111], v[137:138]
	v_fma_f64 v[252:253], v[108:109], s[6:7], v[16:17]
	v_mul_f64 v[16:17], v[90:91], s[18:19]
	v_add_f64 v[92:93], v[146:147], v[2:3]
	v_fma_f64 v[134:135], v[90:91], s[2:3], v[88:89]
	v_add_f64 v[94:95], v[20:21], v[252:253]
	v_fma_f64 v[6:7], v[10:11], s[8:9], v[16:17]
	v_mul_f64 v[10:11], v[254:255], s[20:21]
	v_add_f64 v[16:17], v[146:147], -v[2:3]
	v_add_f64 v[2:3], v[78:79], -v[54:55]
	v_add_f64 v[88:89], v[22:23], v[134:135]
	v_add_f64 v[108:109], v[22:23], -v[134:135]
	v_add_f64 v[90:91], v[24:25], v[6:7]
	v_fma_f64 v[143:144], v[8:9], s[14:15], v[10:11]
	v_add_f64 v[8:9], v[12:13], -v[4:5]
	v_add_f64 v[4:5], v[14:15], -v[0:1]
	v_add_f64 v[0:1], v[104:105], v[82:83]
	v_add_f64 v[12:13], v[18:19], -v[118:119]
	v_add_f64 v[18:19], v[20:21], -v[252:253]
	;; [unrolled: 1-line block ×4, first 2 shown]
	v_add_f64 v[126:127], v[26:27], v[143:144]
	v_add_f64 v[6:7], v[26:27], -v[143:144]
	v_add_f64 v[24:25], v[70:71], -v[62:63]
	v_add_f64 v[0:1], v[0:1], v[74:75]
	v_add_f64 v[26:27], v[82:83], -v[74:75]
	v_add_f64 v[118:119], v[58:59], -v[66:67]
	;; [unrolled: 1-line block ×4, first 2 shown]
	v_add_f64 v[0:1], v[0:1], v[66:67]
	v_add_f64 v[26:27], v[26:27], v[118:119]
	;; [unrolled: 1-line block ×4, first 2 shown]
	v_fma_f64 v[0:1], v[0:1], -0.5, v[104:105]
	v_fma_f64 v[22:23], v[2:3], s[2:3], v[0:1]
	v_fma_f64 v[0:1], v[2:3], s[8:9], v[0:1]
	;; [unrolled: 1-line block ×6, first 2 shown]
	v_add_f64 v[0:1], v[82:83], v[58:59]
	v_fma_f64 v[0:1], v[0:1], -0.5, v[104:105]
	v_add_f64 v[104:105], v[74:75], -v[82:83]
	v_fma_f64 v[22:23], v[24:25], s[8:9], v[0:1]
	v_fma_f64 v[0:1], v[24:25], s[2:3], v[0:1]
	v_add_f64 v[104:105], v[104:105], v[130:131]
	v_fma_f64 v[22:23], v[2:3], s[4:5], v[22:23]
	v_fma_f64 v[0:1], v[2:3], s[14:15], v[0:1]
	v_add_f64 v[2:3], v[82:83], -v[58:59]
	v_add_f64 v[58:59], v[74:75], -v[66:67]
	;; [unrolled: 1-line block ×5, first 2 shown]
	v_fma_f64 v[130:131], v[104:105], s[6:7], v[22:23]
	v_fma_f64 v[24:25], v[104:105], s[6:7], v[0:1]
	v_add_f64 v[0:1], v[106:107], v[78:79]
	v_add_f64 v[104:105], v[68:69], -v[76:77]
	v_add_f64 v[66:67], v[66:67], v[74:75]
	v_add_f64 v[0:1], v[0:1], v[70:71]
	;; [unrolled: 1-line block ×5, first 2 shown]
	v_add_f64 v[70:71], v[70:71], -v[78:79]
	v_fma_f64 v[0:1], v[0:1], -0.5, v[106:107]
	v_fma_f64 v[22:23], v[2:3], s[8:9], v[0:1]
	v_fma_f64 v[0:1], v[2:3], s[2:3], v[0:1]
	;; [unrolled: 1-line block ×6, first 2 shown]
	v_add_f64 v[0:1], v[78:79], v[54:55]
	v_add_f64 v[54:55], v[62:63], -v[54:55]
	v_add_f64 v[62:63], v[76:77], -v[68:69]
	v_fma_f64 v[0:1], v[0:1], -0.5, v[106:107]
	v_add_f64 v[54:55], v[70:71], v[54:55]
	v_add_f64 v[62:63], v[62:63], v[82:83]
	v_add_f64 v[106:107], v[60:61], -v[52:53]
	v_fma_f64 v[66:67], v[58:59], s[2:3], v[0:1]
	v_fma_f64 v[0:1], v[58:59], s[8:9], v[0:1]
	v_add_f64 v[58:59], v[64:65], -v[56:57]
	v_add_f64 v[104:105], v[104:105], v[106:107]
	v_fma_f64 v[66:67], v[2:3], s[14:15], v[66:67]
	v_fma_f64 v[0:1], v[2:3], s[4:5], v[0:1]
	v_add_f64 v[2:3], v[72:73], -v[48:49]
	v_fma_f64 v[70:71], v[54:55], s[6:7], v[66:67]
	v_fma_f64 v[66:67], v[54:55], s[6:7], v[0:1]
	v_add_f64 v[0:1], v[132:133], v[76:77]
	v_add_f64 v[0:1], v[0:1], v[68:69]
	;; [unrolled: 1-line block ×5, first 2 shown]
	v_add_f64 v[60:61], v[68:69], -v[60:61]
	v_add_f64 v[68:69], v[48:49], -v[56:57]
	v_fma_f64 v[0:1], v[0:1], -0.5, v[132:133]
	v_fma_f64 v[54:55], v[2:3], s[2:3], v[0:1]
	v_fma_f64 v[0:1], v[2:3], s[8:9], v[0:1]
	;; [unrolled: 1-line block ×6, first 2 shown]
	v_add_f64 v[0:1], v[76:77], v[52:53]
	v_add_f64 v[52:53], v[76:77], -v[52:53]
	v_fma_f64 v[0:1], v[0:1], -0.5, v[132:133]
	v_fma_f64 v[62:63], v[58:59], s[8:9], v[0:1]
	v_fma_f64 v[0:1], v[58:59], s[2:3], v[0:1]
	;; [unrolled: 1-line block ×6, first 2 shown]
	v_add_f64 v[0:1], v[80:81], v[72:73]
	v_add_f64 v[62:63], v[72:73], -v[64:65]
	v_add_f64 v[0:1], v[0:1], v[64:65]
	v_add_f64 v[62:63], v[62:63], v[68:69]
	;; [unrolled: 1-line block ×5, first 2 shown]
	v_add_f64 v[64:65], v[64:65], -v[72:73]
	v_fma_f64 v[0:1], v[0:1], -0.5, v[80:81]
	v_fma_f64 v[58:59], v[52:53], s[8:9], v[0:1]
	v_fma_f64 v[0:1], v[52:53], s[2:3], v[0:1]
	;; [unrolled: 1-line block ×6, first 2 shown]
	v_add_f64 v[0:1], v[72:73], v[48:49]
	v_add_f64 v[48:49], v[56:57], -v[48:49]
	v_fma_f64 v[0:1], v[0:1], -0.5, v[80:81]
	v_add_f64 v[48:49], v[64:65], v[48:49]
	v_add_f64 v[80:81], v[20:21], -v[78:79]
	v_fma_f64 v[62:63], v[60:61], s[2:3], v[0:1]
	v_fma_f64 v[0:1], v[60:61], s[8:9], v[0:1]
	v_add_f64 v[60:61], v[20:21], v[78:79]
	v_add_f64 v[20:21], v[112:113], v[44:45]
	v_fma_f64 v[62:63], v[52:53], s[14:15], v[62:63]
	v_fma_f64 v[0:1], v[52:53], s[4:5], v[0:1]
	v_add_f64 v[20:21], v[20:21], v[121:122]
	v_fma_f64 v[64:65], v[48:49], s[6:7], v[62:63]
	v_fma_f64 v[48:49], v[48:49], s[6:7], v[0:1]
	v_mul_f64 v[0:1], v[58:59], s[4:5]
	v_add_f64 v[20:21], v[20:21], v[116:117]
	v_add_f64 v[62:63], v[134:135], v[132:133]
	v_fma_f64 v[72:73], v[54:55], s[16:17], v[0:1]
	v_mul_f64 v[0:1], v[64:65], s[2:3]
	v_mul_f64 v[54:55], v[54:55], s[14:15]
	v_add_f64 v[56:57], v[118:119], v[72:73]
	v_fma_f64 v[137:138], v[106:107], s[6:7], v[0:1]
	v_mul_f64 v[0:1], v[2:3], s[18:19]
	v_fma_f64 v[150:151], v[58:59], s[16:17], v[54:55]
	v_mul_f64 v[54:55], v[106:107], s[8:9]
	v_add_f64 v[76:77], v[118:119], -v[72:73]
	v_add_f64 v[118:119], v[44:45], -v[121:122]
	v_add_f64 v[52:53], v[130:131], v[137:138]
	v_fma_f64 v[143:144], v[48:49], s[2:3], v[0:1]
	v_mul_f64 v[48:49], v[48:49], s[18:19]
	v_fma_f64 v[252:253], v[64:65], s[6:7], v[54:55]
	v_mul_f64 v[0:1], v[82:83], s[20:21]
	v_add_f64 v[58:59], v[74:75], v[150:151]
	v_add_f64 v[78:79], v[74:75], -v[150:151]
	v_add_f64 v[72:73], v[130:131], -v[137:138]
	;; [unrolled: 1-line block ×3, first 2 shown]
	v_add_f64 v[104:105], v[24:25], v[143:144]
	v_fma_f64 v[48:49], v[2:3], s[8:9], v[48:49]
	v_mul_f64 v[2:3], v[68:69], s[20:21]
	v_add_f64 v[54:55], v[70:71], v[252:253]
	v_add_f64 v[74:75], v[70:71], -v[252:253]
	v_fma_f64 v[146:147], v[68:69], s[4:5], v[0:1]
	v_add_f64 v[68:69], v[24:25], -v[143:144]
	v_add_f64 v[118:119], v[118:119], v[130:131]
	v_add_f64 v[106:107], v[66:67], v[48:49]
	v_fma_f64 v[254:255], v[82:83], s[14:15], v[2:3]
	v_add_f64 v[70:71], v[66:67], -v[48:49]
	v_add_f64 v[48:49], v[20:21], v[50:51]
	v_add_f64 v[20:21], v[121:122], v[116:117]
	;; [unrolled: 1-line block ×3, first 2 shown]
	v_add_f64 v[64:65], v[26:27], -v[146:147]
	v_add_f64 v[26:27], v[34:35], -v[30:31]
	;; [unrolled: 1-line block ×3, first 2 shown]
	v_add_f64 v[2:3], v[22:23], v[254:255]
	v_add_f64 v[66:67], v[22:23], -v[254:255]
	v_add_f64 v[22:23], v[40:41], -v[28:29]
	v_fma_f64 v[20:21], v[20:21], -0.5, v[112:113]
	v_add_f64 v[132:133], v[116:117], -v[50:51]
	v_fma_f64 v[24:25], v[22:23], s[2:3], v[20:21]
	v_fma_f64 v[20:21], v[22:23], s[8:9], v[20:21]
	;; [unrolled: 1-line block ×6, first 2 shown]
	v_add_f64 v[20:21], v[44:45], v[50:51]
	v_fma_f64 v[20:21], v[20:21], -0.5, v[112:113]
	v_add_f64 v[112:113], v[121:122], -v[44:45]
	v_fma_f64 v[24:25], v[26:27], s[8:9], v[20:21]
	v_fma_f64 v[20:21], v[26:27], s[2:3], v[20:21]
	v_add_f64 v[112:113], v[112:113], v[132:133]
	v_add_f64 v[26:27], v[121:122], -v[116:117]
	v_fma_f64 v[24:25], v[22:23], s[4:5], v[24:25]
	v_fma_f64 v[20:21], v[22:23], s[14:15], v[20:21]
	;; [unrolled: 1-line block ×4, first 2 shown]
	v_add_f64 v[20:21], v[114:115], v[40:41]
	v_add_f64 v[24:25], v[44:45], -v[50:51]
	v_add_f64 v[44:45], v[40:41], -v[34:35]
	v_add_f64 v[50:51], v[28:29], -v[30:31]
	v_add_f64 v[20:21], v[20:21], v[34:35]
	v_add_f64 v[44:45], v[44:45], v[50:51]
	;; [unrolled: 1-line block ×5, first 2 shown]
	v_add_f64 v[34:35], v[34:35], -v[40:41]
	v_fma_f64 v[20:21], v[20:21], -0.5, v[114:115]
	v_fma_f64 v[22:23], v[24:25], s[8:9], v[20:21]
	v_fma_f64 v[20:21], v[24:25], s[2:3], v[20:21]
	;; [unrolled: 1-line block ×6, first 2 shown]
	v_add_f64 v[20:21], v[40:41], v[28:29]
	v_add_f64 v[28:29], v[30:31], -v[28:29]
	v_add_f64 v[30:31], v[84:85], -v[42:43]
	;; [unrolled: 1-line block ×3, first 2 shown]
	v_fma_f64 v[20:21], v[20:21], -0.5, v[114:115]
	v_add_f64 v[28:29], v[34:35], v[28:29]
	v_add_f64 v[34:35], v[86:87], -v[46:47]
	v_fma_f64 v[44:45], v[26:27], s[2:3], v[20:21]
	v_fma_f64 v[20:21], v[26:27], s[8:9], v[20:21]
	v_add_f64 v[26:27], v[128:129], -v[38:39]
	v_add_f64 v[34:35], v[34:35], v[40:41]
	v_add_f64 v[40:41], v[32:33], -v[36:37]
	v_fma_f64 v[44:45], v[24:25], s[14:15], v[44:45]
	v_fma_f64 v[20:21], v[24:25], s[4:5], v[20:21]
	v_add_f64 v[24:25], v[139:140], v[86:87]
	v_fma_f64 v[114:115], v[28:29], s[6:7], v[44:45]
	v_fma_f64 v[20:21], v[28:29], s[6:7], v[20:21]
	v_add_f64 v[24:25], v[24:25], v[46:47]
	v_add_f64 v[24:25], v[24:25], v[32:33]
	v_add_f64 v[44:45], v[24:25], v[36:37]
	v_add_f64 v[24:25], v[46:47], v[32:33]
	v_fma_f64 v[24:25], v[24:25], -0.5, v[139:140]
	v_fma_f64 v[28:29], v[26:27], s[2:3], v[24:25]
	v_fma_f64 v[24:25], v[26:27], s[8:9], v[24:25]
	;; [unrolled: 1-line block ×6, first 2 shown]
	v_add_f64 v[24:25], v[86:87], v[36:37]
	v_add_f64 v[34:35], v[46:47], -v[86:87]
	v_fma_f64 v[24:25], v[24:25], -0.5, v[139:140]
	v_add_f64 v[34:35], v[34:35], v[40:41]
	v_fma_f64 v[28:29], v[30:31], s[8:9], v[24:25]
	v_fma_f64 v[24:25], v[30:31], s[2:3], v[24:25]
	v_add_f64 v[30:31], v[46:47], -v[32:33]
	v_add_f64 v[32:33], v[128:129], -v[84:85]
	v_fma_f64 v[28:29], v[26:27], s[4:5], v[28:29]
	v_fma_f64 v[24:25], v[26:27], s[14:15], v[24:25]
	v_add_f64 v[26:27], v[86:87], -v[36:37]
	v_add_f64 v[36:37], v[42:43], -v[38:39]
	v_fma_f64 v[137:138], v[34:35], s[6:7], v[28:29]
	v_fma_f64 v[139:140], v[34:35], s[6:7], v[24:25]
	v_add_f64 v[24:25], v[141:142], v[128:129]
	v_add_f64 v[34:35], v[38:39], -v[42:43]
	v_add_f64 v[24:25], v[24:25], v[84:85]
	v_add_f64 v[32:33], v[32:33], v[34:35]
	;; [unrolled: 1-line block ×5, first 2 shown]
	v_fma_f64 v[24:25], v[24:25], -0.5, v[141:142]
	v_fma_f64 v[28:29], v[26:27], s[8:9], v[24:25]
	v_fma_f64 v[24:25], v[26:27], s[2:3], v[24:25]
	;; [unrolled: 1-line block ×6, first 2 shown]
	v_add_f64 v[24:25], v[128:129], v[38:39]
	v_add_f64 v[32:33], v[84:85], -v[128:129]
	v_fma_f64 v[24:25], v[24:25], -0.5, v[141:142]
	v_add_f64 v[32:33], v[32:33], v[36:37]
	v_fma_f64 v[28:29], v[30:31], s[2:3], v[24:25]
	v_fma_f64 v[24:25], v[30:31], s[8:9], v[24:25]
	v_mul_f64 v[30:31], v[116:117], s[14:15]
	v_fma_f64 v[28:29], v[26:27], s[14:15], v[28:29]
	v_fma_f64 v[24:25], v[26:27], s[4:5], v[24:25]
	v_mul_f64 v[26:27], v[34:35], s[4:5]
	v_fma_f64 v[146:147], v[34:35], s[16:17], v[30:31]
	v_mul_f64 v[34:35], v[137:138], s[8:9]
	v_fma_f64 v[38:39], v[32:33], s[6:7], v[28:29]
	v_fma_f64 v[42:43], v[32:33], s[6:7], v[24:25]
	;; [unrolled: 1-line block ×3, first 2 shown]
	v_add_f64 v[24:25], v[48:49], v[44:45]
	v_add_f64 v[30:31], v[50:51], v[146:147]
	v_add_f64 v[44:45], v[48:49], -v[44:45]
	v_add_f64 v[50:51], v[50:51], -v[146:147]
	v_mul_f64 v[26:27], v[38:39], s[2:3]
	v_add_f64 v[28:29], v[130:131], v[84:85]
	v_add_f64 v[48:49], v[130:131], -v[84:85]
	v_fma_f64 v[86:87], v[137:138], s[6:7], v[26:27]
	v_mul_f64 v[26:27], v[139:140], s[18:19]
	v_fma_f64 v[137:138], v[38:39], s[6:7], v[34:35]
	v_mul_f64 v[38:39], v[42:43], s[18:19]
	v_add_f64 v[32:33], v[132:133], v[86:87]
	v_fma_f64 v[128:129], v[42:43], s[2:3], v[26:27]
	v_mul_f64 v[26:27], v[121:122], s[20:21]
	v_mul_f64 v[42:43], v[46:47], s[20:21]
	v_fma_f64 v[139:140], v[139:140], s[8:9], v[38:39]
	v_add_f64 v[34:35], v[114:115], v[137:138]
	v_add_f64 v[84:85], v[132:133], -v[86:87]
	v_add_f64 v[86:87], v[114:115], -v[137:138]
	v_add_f64 v[36:37], v[112:113], v[128:129]
	v_fma_f64 v[141:142], v[46:47], s[4:5], v[26:27]
	v_fma_f64 v[121:122], v[121:122], s[14:15], v[42:43]
	v_add_f64 v[26:27], v[134:135], v[143:144]
	v_add_f64 v[38:39], v[20:21], v[139:140]
	v_add_f64 v[112:113], v[112:113], -v[128:129]
	v_add_f64 v[46:47], v[134:135], -v[143:144]
	;; [unrolled: 1-line block ×3, first 2 shown]
	v_add_f64 v[40:41], v[118:119], v[141:142]
	v_add_f64 v[42:43], v[22:23], v[121:122]
	v_add_f64 v[116:117], v[118:119], -v[141:142]
	v_add_f64 v[118:119], v[22:23], -v[121:122]
	ds_write_b128 v120, v[96:99]
	ds_write_b128 v120, v[100:103] offset:4800
	ds_write_b128 v120, v[92:95] offset:9600
	;; [unrolled: 1-line block ×29, first 2 shown]
	s_waitcnt lgkmcnt(0)
	s_barrier
	ds_read_b128 v[2:5], v120
	buffer_load_dword v6, off, s[36:39], 0 offset:1396 ; 4-byte Folded Reload
	buffer_load_dword v7, off, s[36:39], 0 offset:1400 ; 4-byte Folded Reload
	v_add_co_u32_e32 v0, vcc, s10, v148
	v_addc_co_u32_e32 v1, vcc, 0, v153, vcc
	s_mov_b32 s10, 0xc000
	s_waitcnt vmcnt(0)
	global_load_dwordx4 v[6:9], v[6:7], off offset:2944
	s_waitcnt vmcnt(0) lgkmcnt(0)
	v_mul_f64 v[10:11], v[4:5], v[8:9]
	v_fma_f64 v[10:11], v[2:3], v[6:7], -v[10:11]
	v_mul_f64 v[2:3], v[2:3], v[8:9]
	v_fma_f64 v[12:13], v[4:5], v[6:7], v[2:3]
	v_add_co_u32_e32 v6, vcc, s10, v148
	v_addc_co_u32_e32 v7, vcc, 0, v153, vcc
	global_load_dwordx4 v[6:9], v[6:7], off offset:3648
	ds_read_b128 v[2:5], v120 offset:4800
	s_mov_b32 s10, 0xe000
	ds_write_b128 v120, v[10:13]
	s_waitcnt vmcnt(0) lgkmcnt(1)
	v_mul_f64 v[10:11], v[4:5], v[8:9]
	v_fma_f64 v[10:11], v[2:3], v[6:7], -v[10:11]
	v_mul_f64 v[2:3], v[2:3], v[8:9]
	v_fma_f64 v[12:13], v[4:5], v[6:7], v[2:3]
	v_add_co_u32_e32 v2, vcc, s10, v148
	v_addc_co_u32_e32 v3, vcc, 0, v153, vcc
	ds_read_b128 v[4:7], v120 offset:9600
	s_mov_b32 s10, 0xf000
	v_add_co_u32_e32 v26, vcc, s10, v148
	ds_write_b128 v120, v[10:13] offset:4800
	global_load_dwordx4 v[8:11], v[2:3], off offset:256
	v_addc_co_u32_e32 v27, vcc, 0, v153, vcc
	s_mov_b32 s10, 0x10000
	s_waitcnt vmcnt(0) lgkmcnt(1)
	v_mul_f64 v[12:13], v[6:7], v[10:11]
	v_fma_f64 v[12:13], v[4:5], v[8:9], -v[12:13]
	v_mul_f64 v[4:5], v[4:5], v[10:11]
	v_fma_f64 v[14:15], v[6:7], v[8:9], v[4:5]
	global_load_dwordx4 v[8:11], v[26:27], off offset:960
	ds_read_b128 v[4:7], v120 offset:14400
	ds_write_b128 v120, v[12:15] offset:9600
	s_waitcnt vmcnt(0) lgkmcnt(1)
	v_mul_f64 v[12:13], v[6:7], v[10:11]
	v_fma_f64 v[12:13], v[4:5], v[8:9], -v[12:13]
	v_mul_f64 v[4:5], v[4:5], v[10:11]
	v_fma_f64 v[14:15], v[6:7], v[8:9], v[4:5]
	v_add_co_u32_e32 v4, vcc, s10, v148
	v_addc_co_u32_e32 v5, vcc, 0, v153, vcc
	ds_read_b128 v[6:9], v120 offset:19200
	s_mov_b32 s10, 0x11000
	ds_write_b128 v120, v[12:15] offset:14400
	global_load_dwordx4 v[10:13], v[4:5], off offset:1664
	s_waitcnt vmcnt(0) lgkmcnt(1)
	v_mul_f64 v[14:15], v[8:9], v[12:13]
	v_fma_f64 v[14:15], v[6:7], v[10:11], -v[14:15]
	v_mul_f64 v[6:7], v[6:7], v[12:13]
	v_fma_f64 v[16:17], v[8:9], v[10:11], v[6:7]
	v_add_co_u32_e32 v8, vcc, s10, v148
	v_addc_co_u32_e32 v9, vcc, 0, v153, vcc
	ds_read_b128 v[10:13], v120 offset:24000
	s_mov_b32 s10, 0x12000
	ds_write_b128 v120, v[14:17] offset:19200
	global_load_dwordx4 v[14:17], v[8:9], off offset:2368
	s_waitcnt vmcnt(0) lgkmcnt(1)
	v_mul_f64 v[6:7], v[12:13], v[16:17]
	v_fma_f64 v[18:19], v[10:11], v[14:15], -v[6:7]
	v_mul_f64 v[6:7], v[10:11], v[16:17]
	v_add_co_u32_e32 v10, vcc, s10, v148
	v_addc_co_u32_e32 v11, vcc, 0, v153, vcc
	s_mov_b32 s10, 0x13000
	v_fma_f64 v[20:21], v[12:13], v[14:15], v[6:7]
	ds_read_b128 v[12:15], v120 offset:28800
	ds_write_b128 v120, v[18:21] offset:24000
	global_load_dwordx4 v[16:19], v[10:11], off offset:3072
	s_waitcnt vmcnt(0) lgkmcnt(1)
	v_mul_f64 v[6:7], v[14:15], v[18:19]
	v_fma_f64 v[20:21], v[12:13], v[16:17], -v[6:7]
	v_mul_f64 v[6:7], v[12:13], v[18:19]
	v_add_co_u32_e32 v12, vcc, s10, v148
	v_addc_co_u32_e32 v13, vcc, 0, v153, vcc
	s_mov_b32 s10, 0x15000
	v_fma_f64 v[22:23], v[14:15], v[16:17], v[6:7]
	ds_read_b128 v[14:17], v120 offset:33600
	ds_write_b128 v120, v[20:23] offset:28800
	global_load_dwordx4 v[18:21], v[12:13], off offset:3776
	s_waitcnt vmcnt(0) lgkmcnt(1)
	v_mul_f64 v[6:7], v[16:17], v[20:21]
	v_fma_f64 v[22:23], v[14:15], v[18:19], -v[6:7]
	v_mul_f64 v[6:7], v[14:15], v[20:21]
	v_fma_f64 v[24:25], v[16:17], v[18:19], v[6:7]
	v_add_co_u32_e32 v6, vcc, s10, v148
	v_addc_co_u32_e32 v7, vcc, 0, v153, vcc
	global_load_dwordx4 v[18:21], v[6:7], off offset:384
	ds_read_b128 v[14:17], v120 offset:38400
	s_mov_b32 s10, 0x16000
	ds_write_b128 v120, v[22:25] offset:33600
	v_add_co_u32_e32 v28, vcc, s10, v148
	v_addc_co_u32_e32 v29, vcc, 0, v153, vcc
	s_mov_b32 s10, 0xd000
	v_add_co_u32_e32 v30, vcc, s10, v148
	v_addc_co_u32_e32 v31, vcc, 0, v153, vcc
	s_mov_b32 s10, 0x14000
	s_waitcnt vmcnt(0) lgkmcnt(1)
	v_mul_f64 v[22:23], v[16:17], v[20:21]
	v_fma_f64 v[22:23], v[14:15], v[18:19], -v[22:23]
	v_mul_f64 v[14:15], v[14:15], v[20:21]
	v_fma_f64 v[24:25], v[16:17], v[18:19], v[14:15]
	global_load_dwordx4 v[18:21], v[28:29], off offset:1088
	ds_read_b128 v[14:17], v120 offset:43200
	ds_write_b128 v120, v[22:25] offset:38400
	s_waitcnt vmcnt(0) lgkmcnt(1)
	v_mul_f64 v[22:23], v[16:17], v[20:21]
	v_fma_f64 v[22:23], v[14:15], v[18:19], -v[22:23]
	v_mul_f64 v[14:15], v[14:15], v[20:21]
	v_fma_f64 v[24:25], v[16:17], v[18:19], v[14:15]
	global_load_dwordx4 v[18:21], v[0:1], off offset:1600
	ds_read_b128 v[14:17], v120 offset:1600
	ds_write_b128 v120, v[22:25] offset:43200
	;; [unrolled: 8-line block ×4, first 2 shown]
	s_waitcnt vmcnt(0) lgkmcnt(1)
	v_mul_f64 v[22:23], v[16:17], v[20:21]
	v_fma_f64 v[22:23], v[14:15], v[18:19], -v[22:23]
	v_mul_f64 v[14:15], v[14:15], v[20:21]
	v_fma_f64 v[24:25], v[16:17], v[18:19], v[14:15]
	global_load_dwordx4 v[18:21], v[26:27], off offset:2560
	ds_read_b128 v[14:17], v120 offset:16000
	v_add_co_u32_e32 v26, vcc, s10, v148
	v_addc_co_u32_e32 v27, vcc, 0, v153, vcc
	s_mov_b32 s10, 0x17000
	ds_write_b128 v120, v[22:25] offset:11200
	s_waitcnt vmcnt(0) lgkmcnt(1)
	v_mul_f64 v[22:23], v[16:17], v[20:21]
	v_fma_f64 v[22:23], v[14:15], v[18:19], -v[22:23]
	v_mul_f64 v[14:15], v[14:15], v[20:21]
	v_fma_f64 v[24:25], v[16:17], v[18:19], v[14:15]
	global_load_dwordx4 v[18:21], v[4:5], off offset:3264
	ds_read_b128 v[14:17], v120 offset:20800
	ds_write_b128 v120, v[22:25] offset:16000
	s_waitcnt vmcnt(0) lgkmcnt(1)
	v_mul_f64 v[22:23], v[16:17], v[20:21]
	v_fma_f64 v[22:23], v[14:15], v[18:19], -v[22:23]
	v_mul_f64 v[14:15], v[14:15], v[20:21]
	v_fma_f64 v[24:25], v[16:17], v[18:19], v[14:15]
	global_load_dwordx4 v[18:21], v[8:9], off offset:3968
	ds_read_b128 v[14:17], v120 offset:25600
	;; [unrolled: 8-line block ×9, first 2 shown]
	ds_write_b128 v120, v[22:25] offset:8000
	s_waitcnt vmcnt(0) lgkmcnt(1)
	v_mul_f64 v[18:19], v[16:17], v[2:3]
	v_mul_f64 v[2:3], v[14:15], v[2:3]
	v_fma_f64 v[18:19], v[14:15], v[0:1], -v[18:19]
	v_fma_f64 v[20:21], v[16:17], v[0:1], v[2:3]
	global_load_dwordx4 v[14:17], v[4:5], off offset:64
	ds_read_b128 v[0:3], v120 offset:17600
	ds_write_b128 v120, v[18:21] offset:12800
	s_waitcnt vmcnt(0) lgkmcnt(1)
	v_mul_f64 v[4:5], v[2:3], v[16:17]
	v_fma_f64 v[18:19], v[0:1], v[14:15], -v[4:5]
	v_mul_f64 v[0:1], v[0:1], v[16:17]
	v_fma_f64 v[20:21], v[2:3], v[14:15], v[0:1]
	global_load_dwordx4 v[14:17], v[8:9], off offset:768
	ds_read_b128 v[0:3], v120 offset:22400
	global_load_dwordx4 v[8:11], v[10:11], off offset:1472
	ds_write_b128 v120, v[18:21] offset:17600
	s_waitcnt vmcnt(1) lgkmcnt(1)
	v_mul_f64 v[4:5], v[2:3], v[16:17]
	v_fma_f64 v[18:19], v[0:1], v[14:15], -v[4:5]
	v_mul_f64 v[0:1], v[0:1], v[16:17]
	v_fma_f64 v[20:21], v[2:3], v[14:15], v[0:1]
	ds_read_b128 v[0:3], v120 offset:27200
	s_waitcnt vmcnt(0) lgkmcnt(0)
	v_mul_f64 v[4:5], v[2:3], v[10:11]
	ds_write_b128 v120, v[18:21] offset:22400
	v_fma_f64 v[14:15], v[0:1], v[8:9], -v[4:5]
	v_mul_f64 v[0:1], v[0:1], v[10:11]
	v_fma_f64 v[16:17], v[2:3], v[8:9], v[0:1]
	global_load_dwordx4 v[8:11], v[12:13], off offset:2176
	ds_read_b128 v[0:3], v120 offset:32000
	ds_write_b128 v120, v[14:17] offset:27200
	s_waitcnt vmcnt(0) lgkmcnt(1)
	v_mul_f64 v[4:5], v[2:3], v[10:11]
	v_fma_f64 v[12:13], v[0:1], v[8:9], -v[4:5]
	v_mul_f64 v[0:1], v[0:1], v[10:11]
	v_fma_f64 v[14:15], v[2:3], v[8:9], v[0:1]
	global_load_dwordx4 v[8:11], v[26:27], off offset:2880
	ds_read_b128 v[0:3], v120 offset:36800
	ds_write_b128 v120, v[12:15] offset:32000
	s_waitcnt vmcnt(0) lgkmcnt(1)
	v_mul_f64 v[4:5], v[2:3], v[10:11]
	v_fma_f64 v[12:13], v[0:1], v[8:9], -v[4:5]
	global_load_dwordx4 v[4:7], v[6:7], off offset:3584
	v_mul_f64 v[0:1], v[0:1], v[10:11]
	v_fma_f64 v[14:15], v[2:3], v[8:9], v[0:1]
	ds_read_b128 v[0:3], v120 offset:41600
	ds_write_b128 v120, v[12:15] offset:36800
	s_waitcnt vmcnt(0) lgkmcnt(1)
	v_mul_f64 v[8:9], v[2:3], v[6:7]
	v_fma_f64 v[8:9], v[0:1], v[4:5], -v[8:9]
	v_mul_f64 v[0:1], v[0:1], v[6:7]
	v_fma_f64 v[10:11], v[2:3], v[4:5], v[0:1]
	v_add_co_u32_e32 v4, vcc, s10, v148
	v_addc_co_u32_e32 v5, vcc, 0, v153, vcc
	global_load_dwordx4 v[4:7], v[4:5], off offset:192
	ds_read_b128 v[0:3], v120 offset:46400
	ds_write_b128 v120, v[8:11] offset:41600
	s_waitcnt vmcnt(0) lgkmcnt(1)
	v_mul_f64 v[8:9], v[2:3], v[6:7]
	v_fma_f64 v[8:9], v[0:1], v[4:5], -v[8:9]
	v_mul_f64 v[0:1], v[0:1], v[6:7]
	v_fma_f64 v[10:11], v[2:3], v[4:5], v[0:1]
	ds_write_b128 v120, v[8:11] offset:46400
	s_waitcnt lgkmcnt(0)
	s_barrier
	ds_read_b128 v[60:63], v120
	ds_read_b128 v[52:55], v120 offset:4800
	ds_read_b128 v[64:67], v120 offset:9600
	;; [unrolled: 1-line block ×29, first 2 shown]
	s_waitcnt lgkmcnt(14)
	v_add_f64 v[121:122], v[60:61], v[64:65]
	v_add_f64 v[126:127], v[66:67], -v[78:79]
	v_add_f64 v[130:131], v[70:71], -v[74:75]
	;; [unrolled: 1-line block ×5, first 2 shown]
	s_waitcnt lgkmcnt(0)
	s_barrier
	v_add_f64 v[121:122], v[121:122], v[68:69]
	v_add_f64 v[132:133], v[132:133], v[134:135]
	v_add_f64 v[134:135], v[68:69], -v[64:65]
	v_add_f64 v[121:122], v[121:122], v[72:73]
	v_add_f64 v[134:135], v[134:135], v[137:138]
	;; [unrolled: 1-line block ×4, first 2 shown]
	v_add_f64 v[68:69], v[68:69], -v[72:73]
	v_fma_f64 v[121:122], v[121:122], -0.5, v[60:61]
	v_fma_f64 v[128:129], v[126:127], s[8:9], v[121:122]
	v_fma_f64 v[121:122], v[126:127], s[2:3], v[121:122]
	;; [unrolled: 1-line block ×6, first 2 shown]
	v_add_f64 v[121:122], v[64:65], v[76:77]
	v_add_f64 v[64:65], v[64:65], -v[76:77]
	v_fma_f64 v[60:61], v[121:122], -0.5, v[60:61]
	v_fma_f64 v[121:122], v[130:131], s[2:3], v[60:61]
	v_fma_f64 v[60:61], v[130:131], s[8:9], v[60:61]
	v_fma_f64 v[121:122], v[126:127], s[14:15], v[121:122]
	v_fma_f64 v[60:61], v[126:127], s[4:5], v[60:61]
	v_fma_f64 v[137:138], v[134:135], s[6:7], v[121:122]
	v_fma_f64 v[126:127], v[134:135], s[6:7], v[60:61]
	v_add_f64 v[60:61], v[62:63], v[66:67]
	v_add_f64 v[121:122], v[78:79], -v[74:75]
	v_add_f64 v[60:61], v[60:61], v[70:71]
	v_add_f64 v[60:61], v[60:61], v[74:75]
	;; [unrolled: 1-line block ×4, first 2 shown]
	v_fma_f64 v[60:61], v[60:61], -0.5, v[62:63]
	v_fma_f64 v[76:77], v[64:65], s[2:3], v[60:61]
	v_fma_f64 v[60:61], v[64:65], s[8:9], v[60:61]
	;; [unrolled: 1-line block ×3, first 2 shown]
	v_add_f64 v[76:77], v[66:67], -v[70:71]
	v_fma_f64 v[60:61], v[68:69], s[14:15], v[60:61]
	v_add_f64 v[76:77], v[76:77], v[121:122]
	v_fma_f64 v[121:122], v[76:77], s[6:7], v[60:61]
	v_add_f64 v[60:61], v[66:67], v[78:79]
	v_add_f64 v[66:67], v[70:71], -v[66:67]
	v_add_f64 v[70:71], v[74:75], -v[78:79]
	v_fma_f64 v[134:135], v[76:77], s[6:7], v[72:73]
	v_fma_f64 v[60:61], v[60:61], -0.5, v[62:63]
	v_add_f64 v[66:67], v[66:67], v[70:71]
	v_add_f64 v[70:71], v[4:5], -v[0:1]
	v_fma_f64 v[62:63], v[68:69], s[8:9], v[60:61]
	v_fma_f64 v[60:61], v[68:69], s[2:3], v[60:61]
	v_add_f64 v[68:69], v[20:21], -v[36:37]
	v_fma_f64 v[62:63], v[64:65], s[4:5], v[62:63]
	v_fma_f64 v[60:61], v[64:65], s[14:15], v[60:61]
	v_add_f64 v[68:69], v[68:69], v[70:71]
	v_fma_f64 v[139:140], v[66:67], s[6:7], v[62:63]
	v_fma_f64 v[141:142], v[66:67], s[6:7], v[60:61]
	v_add_f64 v[60:61], v[52:53], v[20:21]
	v_add_f64 v[62:63], v[22:23], -v[6:7]
	v_add_f64 v[66:67], v[38:39], -v[2:3]
	v_add_f64 v[60:61], v[60:61], v[36:37]
	v_add_f64 v[60:61], v[60:61], v[0:1]
	;; [unrolled: 1-line block ×4, first 2 shown]
	v_fma_f64 v[60:61], v[60:61], -0.5, v[52:53]
	v_fma_f64 v[64:65], v[62:63], s[8:9], v[60:61]
	v_fma_f64 v[60:61], v[62:63], s[2:3], v[60:61]
	;; [unrolled: 1-line block ×6, first 2 shown]
	v_add_f64 v[60:61], v[20:21], v[4:5]
	v_add_f64 v[64:65], v[36:37], -v[20:21]
	v_add_f64 v[68:69], v[0:1], -v[4:5]
	;; [unrolled: 1-line block ×5, first 2 shown]
	v_fma_f64 v[52:53], v[60:61], -0.5, v[52:53]
	v_add_f64 v[64:65], v[64:65], v[68:69]
	v_fma_f64 v[60:61], v[66:67], s[2:3], v[52:53]
	v_fma_f64 v[52:53], v[66:67], s[8:9], v[52:53]
	;; [unrolled: 1-line block ×4, first 2 shown]
	v_add_f64 v[62:63], v[6:7], -v[2:3]
	v_fma_f64 v[74:75], v[64:65], s[6:7], v[60:61]
	v_add_f64 v[60:61], v[54:55], v[22:23]
	v_add_f64 v[36:37], v[36:37], v[62:63]
	v_fma_f64 v[52:53], v[64:65], s[6:7], v[52:53]
	v_add_f64 v[60:61], v[60:61], v[38:39]
	v_add_f64 v[60:61], v[60:61], v[2:3]
	;; [unrolled: 1-line block ×4, first 2 shown]
	v_add_f64 v[2:3], v[2:3], -v[6:7]
	v_add_f64 v[62:63], v[130:131], v[146:147]
	v_fma_f64 v[60:61], v[60:61], -0.5, v[54:55]
	v_fma_f64 v[20:21], v[4:5], s[2:3], v[60:61]
	v_fma_f64 v[60:61], v[4:5], s[8:9], v[60:61]
	;; [unrolled: 1-line block ×6, first 2 shown]
	v_add_f64 v[60:61], v[22:23], v[6:7]
	v_add_f64 v[22:23], v[38:39], -v[22:23]
	v_fma_f64 v[54:55], v[60:61], -0.5, v[54:55]
	v_add_f64 v[2:3], v[22:23], v[2:3]
	v_fma_f64 v[60:61], v[0:1], s[8:9], v[54:55]
	v_fma_f64 v[0:1], v[0:1], s[2:3], v[54:55]
	;; [unrolled: 1-line block ×6, first 2 shown]
	v_add_f64 v[60:61], v[124:125], v[143:144]
	v_mul_f64 v[2:3], v[20:21], s[14:15]
	v_mul_f64 v[4:5], v[6:7], s[8:9]
	v_fma_f64 v[2:3], v[70:71], s[16:17], v[2:3]
	v_fma_f64 v[22:23], v[74:75], s[6:7], v[4:5]
	v_mul_f64 v[4:5], v[0:1], s[8:9]
	v_mul_f64 v[0:1], v[0:1], s[18:19]
	v_add_f64 v[64:65], v[128:129], v[2:3]
	v_add_f64 v[68:69], v[137:138], v[22:23]
	v_fma_f64 v[38:39], v[52:53], s[18:19], v[4:5]
	v_mul_f64 v[4:5], v[36:37], s[14:15]
	v_fma_f64 v[252:253], v[52:53], s[2:3], v[0:1]
	v_mul_f64 v[0:1], v[36:37], s[20:21]
	v_add_f64 v[72:73], v[126:127], v[38:39]
	v_fma_f64 v[54:55], v[78:79], s[20:21], v[4:5]
	v_mul_f64 v[4:5], v[70:71], s[4:5]
	v_fma_f64 v[254:255], v[78:79], s[4:5], v[0:1]
	v_add_f64 v[0:1], v[124:125], -v[143:144]
	v_add_f64 v[124:125], v[44:45], v[48:49]
	v_add_f64 v[36:37], v[126:127], -v[38:39]
	v_add_f64 v[126:127], v[34:35], -v[58:59]
	;; [unrolled: 1-line block ×3, first 2 shown]
	v_add_f64 v[76:77], v[132:133], v[54:55]
	v_fma_f64 v[150:151], v[20:21], s[16:17], v[4:5]
	v_mul_f64 v[4:5], v[6:7], s[6:7]
	v_add_f64 v[52:53], v[132:133], -v[54:55]
	v_fma_f64 v[124:125], v[124:125], -0.5, v[40:41]
	v_add_f64 v[132:133], v[32:33], -v[44:45]
	v_add_f64 v[78:79], v[121:122], v[254:255]
	v_add_f64 v[54:55], v[121:122], -v[254:255]
	v_add_f64 v[121:122], v[40:41], v[32:33]
	v_add_f64 v[66:67], v[134:135], v[150:151]
	v_fma_f64 v[152:153], v[74:75], s[2:3], v[4:5]
	v_add_f64 v[4:5], v[128:129], -v[2:3]
	v_add_f64 v[2:3], v[130:131], -v[146:147]
	v_add_f64 v[6:7], v[134:135], -v[150:151]
	v_fma_f64 v[128:129], v[126:127], s[8:9], v[124:125]
	v_add_f64 v[130:131], v[46:47], -v[50:51]
	v_add_f64 v[134:135], v[56:57], -v[48:49]
	v_fma_f64 v[124:125], v[126:127], s[2:3], v[124:125]
	v_add_f64 v[20:21], v[137:138], -v[22:23]
	v_add_f64 v[137:138], v[48:49], -v[56:57]
	v_add_f64 v[121:122], v[121:122], v[44:45]
	v_add_f64 v[70:71], v[139:140], v[152:153]
	v_add_f64 v[22:23], v[139:140], -v[152:153]
	v_fma_f64 v[128:129], v[130:131], s[14:15], v[128:129]
	v_add_f64 v[132:133], v[132:133], v[134:135]
	v_fma_f64 v[124:125], v[130:131], s[4:5], v[124:125]
	v_add_f64 v[134:135], v[44:45], -v[32:33]
	v_add_f64 v[44:45], v[44:45], -v[48:49]
	v_add_f64 v[121:122], v[121:122], v[48:49]
	v_add_f64 v[74:75], v[141:142], v[252:253]
	v_fma_f64 v[128:129], v[132:133], s[6:7], v[128:129]
	v_fma_f64 v[124:125], v[132:133], s[6:7], v[124:125]
	v_add_f64 v[132:133], v[32:33], v[56:57]
	v_add_f64 v[134:135], v[134:135], v[137:138]
	v_add_f64 v[32:33], v[32:33], -v[56:57]
	v_add_f64 v[121:122], v[121:122], v[56:57]
	v_fma_f64 v[40:41], v[132:133], -0.5, v[40:41]
	v_fma_f64 v[132:133], v[130:131], s[2:3], v[40:41]
	v_fma_f64 v[40:41], v[130:131], s[8:9], v[40:41]
	;; [unrolled: 1-line block ×6, first 2 shown]
	v_add_f64 v[40:41], v[42:43], v[34:35]
	v_add_f64 v[134:135], v[58:59], -v[50:51]
	v_add_f64 v[40:41], v[40:41], v[46:47]
	v_add_f64 v[40:41], v[40:41], v[50:51]
	v_add_f64 v[130:131], v[40:41], v[58:59]
	v_add_f64 v[40:41], v[46:47], v[50:51]
	v_fma_f64 v[40:41], v[40:41], -0.5, v[42:43]
	v_fma_f64 v[56:57], v[32:33], s[2:3], v[40:41]
	v_fma_f64 v[40:41], v[32:33], s[8:9], v[40:41]
	v_fma_f64 v[48:49], v[44:45], s[4:5], v[56:57]
	v_add_f64 v[56:57], v[34:35], -v[46:47]
	v_fma_f64 v[40:41], v[44:45], s[14:15], v[40:41]
	v_add_f64 v[56:57], v[56:57], v[134:135]
	v_fma_f64 v[137:138], v[56:57], s[6:7], v[40:41]
	v_add_f64 v[40:41], v[34:35], v[58:59]
	v_add_f64 v[34:35], v[46:47], -v[34:35]
	v_add_f64 v[46:47], v[50:51], -v[58:59]
	v_fma_f64 v[134:135], v[56:57], s[6:7], v[48:49]
	v_add_f64 v[48:49], v[8:9], -v[16:17]
	v_add_f64 v[56:57], v[28:29], -v[24:25]
	v_add_f64 v[58:59], v[24:25], -v[28:29]
	v_fma_f64 v[40:41], v[40:41], -0.5, v[42:43]
	v_add_f64 v[34:35], v[34:35], v[46:47]
	v_add_f64 v[46:47], v[18:19], -v[26:27]
	v_add_f64 v[48:49], v[48:49], v[56:57]
	v_fma_f64 v[42:43], v[44:45], s[8:9], v[40:41]
	v_fma_f64 v[40:41], v[44:45], s[2:3], v[40:41]
	;; [unrolled: 1-line block ×6, first 2 shown]
	v_add_f64 v[32:33], v[12:13], v[8:9]
	v_add_f64 v[34:35], v[10:11], -v[30:31]
	v_add_f64 v[32:33], v[32:33], v[16:17]
	v_add_f64 v[32:33], v[32:33], v[24:25]
	;; [unrolled: 1-line block ×4, first 2 shown]
	v_fma_f64 v[32:33], v[32:33], -0.5, v[12:13]
	v_fma_f64 v[44:45], v[34:35], s[8:9], v[32:33]
	v_fma_f64 v[32:33], v[34:35], s[2:3], v[32:33]
	;; [unrolled: 1-line block ×6, first 2 shown]
	v_add_f64 v[32:33], v[8:9], v[28:29]
	v_add_f64 v[44:45], v[16:17], -v[8:9]
	v_add_f64 v[8:9], v[8:9], -v[28:29]
	;; [unrolled: 1-line block ×3, first 2 shown]
	v_fma_f64 v[12:13], v[32:33], -0.5, v[12:13]
	v_add_f64 v[44:45], v[44:45], v[58:59]
	v_fma_f64 v[32:33], v[46:47], s[2:3], v[12:13]
	v_fma_f64 v[12:13], v[46:47], s[8:9], v[12:13]
	;; [unrolled: 1-line block ×6, first 2 shown]
	v_add_f64 v[12:13], v[14:15], v[10:11]
	v_add_f64 v[32:33], v[30:31], -v[26:27]
	v_add_f64 v[12:13], v[12:13], v[18:19]
	v_add_f64 v[12:13], v[12:13], v[26:27]
	;; [unrolled: 1-line block ×4, first 2 shown]
	v_fma_f64 v[12:13], v[12:13], -0.5, v[14:15]
	v_fma_f64 v[28:29], v[8:9], s[2:3], v[12:13]
	v_fma_f64 v[12:13], v[8:9], s[8:9], v[12:13]
	;; [unrolled: 1-line block ×3, first 2 shown]
	v_add_f64 v[28:29], v[10:11], -v[18:19]
	v_fma_f64 v[12:13], v[16:17], s[14:15], v[12:13]
	v_add_f64 v[28:29], v[28:29], v[32:33]
	v_fma_f64 v[46:47], v[28:29], s[6:7], v[12:13]
	v_add_f64 v[12:13], v[10:11], v[30:31]
	v_add_f64 v[10:11], v[18:19], -v[10:11]
	v_add_f64 v[18:19], v[26:27], -v[30:31]
	v_fma_f64 v[24:25], v[28:29], s[6:7], v[24:25]
	v_fma_f64 v[12:13], v[12:13], -0.5, v[14:15]
	v_add_f64 v[10:11], v[10:11], v[18:19]
	v_mul_f64 v[18:19], v[56:57], s[4:5]
	v_fma_f64 v[14:15], v[16:17], s[8:9], v[12:13]
	v_fma_f64 v[12:13], v[16:17], s[2:3], v[12:13]
	;; [unrolled: 1-line block ×5, first 2 shown]
	v_add_f64 v[12:13], v[121:122], v[40:41]
	v_add_f64 v[18:19], v[134:135], v[150:151]
	v_fma_f64 v[26:27], v[10:11], s[6:7], v[14:15]
	v_fma_f64 v[8:9], v[10:11], s[6:7], v[8:9]
	v_mul_f64 v[10:11], v[24:25], s[14:15]
	v_mul_f64 v[14:15], v[26:27], s[8:9]
	;; [unrolled: 1-line block ×3, first 2 shown]
	v_fma_f64 v[10:11], v[56:57], s[16:17], v[10:11]
	v_add_f64 v[26:27], v[134:135], -v[150:151]
	v_add_f64 v[134:135], v[116:117], -v[112:113]
	v_fma_f64 v[141:142], v[58:59], s[6:7], v[14:15]
	v_mul_f64 v[14:15], v[8:9], s[8:9]
	v_mul_f64 v[8:9], v[8:9], s[18:19]
	v_add_f64 v[16:17], v[128:129], v[10:11]
	v_fma_f64 v[58:59], v[58:59], s[2:3], v[24:25]
	v_add_f64 v[24:25], v[128:129], -v[10:11]
	v_add_f64 v[10:11], v[130:131], -v[139:140]
	v_add_f64 v[28:29], v[132:133], v[141:142]
	v_fma_f64 v[143:144], v[34:35], s[18:19], v[14:15]
	v_mul_f64 v[14:15], v[46:47], s[14:15]
	v_fma_f64 v[152:153], v[34:35], s[2:3], v[8:9]
	v_mul_f64 v[8:9], v[46:47], s[20:21]
	v_add_f64 v[30:31], v[42:43], v[58:59]
	v_add_f64 v[42:43], v[42:43], -v[58:59]
	v_add_f64 v[32:33], v[126:127], v[143:144]
	v_fma_f64 v[146:147], v[48:49], s[20:21], v[14:15]
	v_add_f64 v[14:15], v[130:131], v[139:140]
	v_fma_f64 v[252:253], v[48:49], s[4:5], v[8:9]
	v_add_f64 v[48:49], v[126:127], -v[143:144]
	v_add_f64 v[126:127], v[102:103], -v[118:119]
	;; [unrolled: 1-line block ×5, first 2 shown]
	v_add_f64 v[44:45], v[124:125], v[146:147]
	v_add_f64 v[56:57], v[124:125], -v[146:147]
	v_add_f64 v[124:125], v[108:109], v[112:113]
	v_add_f64 v[132:133], v[100:101], -v[108:109]
	v_add_f64 v[121:122], v[104:105], v[100:101]
	v_add_f64 v[46:47], v[137:138], v[252:253]
	v_add_f64 v[58:59], v[137:138], -v[252:253]
	v_add_f64 v[137:138], v[112:113], -v[116:117]
	v_add_f64 v[34:35], v[50:51], v[152:153]
	v_add_f64 v[50:51], v[50:51], -v[152:153]
	v_fma_f64 v[124:125], v[124:125], -0.5, v[104:105]
	v_add_f64 v[132:133], v[132:133], v[134:135]
	v_add_f64 v[134:135], v[108:109], -v[100:101]
	v_add_f64 v[121:122], v[121:122], v[108:109]
	v_add_f64 v[108:109], v[108:109], -v[112:113]
	v_fma_f64 v[128:129], v[126:127], s[8:9], v[124:125]
	v_fma_f64 v[124:125], v[126:127], s[2:3], v[124:125]
	v_add_f64 v[134:135], v[134:135], v[137:138]
	v_add_f64 v[121:122], v[121:122], v[112:113]
	v_fma_f64 v[128:129], v[130:131], s[14:15], v[128:129]
	v_fma_f64 v[124:125], v[130:131], s[4:5], v[124:125]
	v_add_f64 v[121:122], v[121:122], v[116:117]
	v_fma_f64 v[128:129], v[132:133], s[6:7], v[128:129]
	v_fma_f64 v[124:125], v[132:133], s[6:7], v[124:125]
	v_add_f64 v[132:133], v[100:101], v[116:117]
	v_add_f64 v[100:101], v[100:101], -v[116:117]
	v_fma_f64 v[104:105], v[132:133], -0.5, v[104:105]
	v_fma_f64 v[132:133], v[130:131], s[2:3], v[104:105]
	v_fma_f64 v[104:105], v[130:131], s[8:9], v[104:105]
	;; [unrolled: 1-line block ×6, first 2 shown]
	v_add_f64 v[104:105], v[106:107], v[102:103]
	v_add_f64 v[134:135], v[118:119], -v[114:115]
	v_add_f64 v[104:105], v[104:105], v[110:111]
	v_add_f64 v[104:105], v[104:105], v[114:115]
	;; [unrolled: 1-line block ×4, first 2 shown]
	v_fma_f64 v[104:105], v[104:105], -0.5, v[106:107]
	v_fma_f64 v[116:117], v[100:101], s[2:3], v[104:105]
	v_fma_f64 v[104:105], v[100:101], s[8:9], v[104:105]
	;; [unrolled: 1-line block ×3, first 2 shown]
	v_add_f64 v[116:117], v[102:103], -v[110:111]
	v_fma_f64 v[104:105], v[108:109], s[14:15], v[104:105]
	v_add_f64 v[116:117], v[116:117], v[134:135]
	v_fma_f64 v[137:138], v[116:117], s[6:7], v[104:105]
	v_add_f64 v[104:105], v[102:103], v[118:119]
	v_add_f64 v[102:103], v[110:111], -v[102:103]
	v_add_f64 v[110:111], v[114:115], -v[118:119]
	v_fma_f64 v[134:135], v[116:117], s[6:7], v[112:113]
	v_add_f64 v[112:113], v[80:81], -v[88:89]
	v_add_f64 v[116:117], v[96:97], -v[92:93]
	;; [unrolled: 1-line block ×3, first 2 shown]
	v_fma_f64 v[104:105], v[104:105], -0.5, v[106:107]
	v_add_f64 v[102:103], v[102:103], v[110:111]
	v_add_f64 v[110:111], v[90:91], -v[94:95]
	v_add_f64 v[112:113], v[112:113], v[116:117]
	v_fma_f64 v[106:107], v[108:109], s[8:9], v[104:105]
	v_fma_f64 v[104:105], v[108:109], s[2:3], v[104:105]
	;; [unrolled: 1-line block ×6, first 2 shown]
	v_add_f64 v[100:101], v[84:85], v[80:81]
	v_add_f64 v[102:103], v[82:83], -v[98:99]
	v_add_f64 v[100:101], v[100:101], v[88:89]
	v_add_f64 v[100:101], v[100:101], v[92:93]
	v_add_f64 v[104:105], v[100:101], v[96:97]
	v_add_f64 v[100:101], v[88:89], v[92:93]
	v_fma_f64 v[100:101], v[100:101], -0.5, v[84:85]
	v_fma_f64 v[108:109], v[102:103], s[8:9], v[100:101]
	v_fma_f64 v[100:101], v[102:103], s[2:3], v[100:101]
	;; [unrolled: 1-line block ×6, first 2 shown]
	v_add_f64 v[100:101], v[80:81], v[96:97]
	v_add_f64 v[108:109], v[88:89], -v[80:81]
	v_add_f64 v[80:81], v[80:81], -v[96:97]
	v_add_f64 v[88:89], v[88:89], -v[92:93]
	v_fma_f64 v[84:85], v[100:101], -0.5, v[84:85]
	v_add_f64 v[108:109], v[108:109], v[118:119]
	v_fma_f64 v[100:101], v[110:111], s[2:3], v[84:85]
	v_fma_f64 v[84:85], v[110:111], s[8:9], v[84:85]
	v_fma_f64 v[100:101], v[102:103], s[14:15], v[100:101]
	v_fma_f64 v[84:85], v[102:103], s[4:5], v[84:85]
	v_fma_f64 v[118:119], v[108:109], s[6:7], v[100:101]
	v_fma_f64 v[102:103], v[108:109], s[6:7], v[84:85]
	v_add_f64 v[84:85], v[86:87], v[82:83]
	v_add_f64 v[100:101], v[98:99], -v[94:95]
	v_add_f64 v[84:85], v[84:85], v[90:91]
	v_add_f64 v[84:85], v[84:85], v[94:95]
	;; [unrolled: 1-line block ×4, first 2 shown]
	v_fma_f64 v[84:85], v[84:85], -0.5, v[86:87]
	v_fma_f64 v[96:97], v[80:81], s[2:3], v[84:85]
	v_fma_f64 v[84:85], v[80:81], s[8:9], v[84:85]
	;; [unrolled: 1-line block ×3, first 2 shown]
	v_add_f64 v[96:97], v[82:83], -v[90:91]
	v_fma_f64 v[84:85], v[88:89], s[14:15], v[84:85]
	v_add_f64 v[96:97], v[96:97], v[100:101]
	v_fma_f64 v[110:111], v[96:97], s[6:7], v[84:85]
	v_add_f64 v[84:85], v[82:83], v[98:99]
	v_add_f64 v[82:83], v[90:91], -v[82:83]
	v_add_f64 v[90:91], v[94:95], -v[98:99]
	v_fma_f64 v[92:93], v[96:97], s[6:7], v[92:93]
	v_fma_f64 v[84:85], v[84:85], -0.5, v[86:87]
	v_add_f64 v[82:83], v[82:83], v[90:91]
	v_mul_f64 v[90:91], v[116:117], s[4:5]
	v_fma_f64 v[86:87], v[88:89], s[8:9], v[84:85]
	v_fma_f64 v[84:85], v[88:89], s[2:3], v[84:85]
	v_fma_f64 v[150:151], v[92:93], s[16:17], v[90:91]
	v_fma_f64 v[86:87], v[80:81], s[4:5], v[86:87]
	v_fma_f64 v[80:81], v[80:81], s[14:15], v[84:85]
	v_add_f64 v[84:85], v[121:122], v[104:105]
	v_add_f64 v[90:91], v[134:135], v[150:151]
	v_fma_f64 v[94:95], v[82:83], s[6:7], v[86:87]
	v_fma_f64 v[80:81], v[82:83], s[6:7], v[80:81]
	v_mul_f64 v[82:83], v[92:93], s[14:15]
	v_mul_f64 v[86:87], v[94:95], s[8:9]
	v_mul_f64 v[92:93], v[94:95], s[6:7]
	v_fma_f64 v[82:83], v[116:117], s[16:17], v[82:83]
	v_add_f64 v[94:95], v[134:135], -v[150:151]
	v_fma_f64 v[141:142], v[118:119], s[6:7], v[86:87]
	v_mul_f64 v[86:87], v[80:81], s[8:9]
	v_mul_f64 v[80:81], v[80:81], s[18:19]
	v_fma_f64 v[118:119], v[118:119], s[2:3], v[92:93]
	v_add_f64 v[88:89], v[128:129], v[82:83]
	v_add_f64 v[92:93], v[128:129], -v[82:83]
	v_add_f64 v[82:83], v[130:131], -v[139:140]
	v_add_f64 v[96:97], v[132:133], v[141:142]
	v_fma_f64 v[143:144], v[102:103], s[18:19], v[86:87]
	v_mul_f64 v[86:87], v[110:111], s[14:15]
	v_fma_f64 v[152:153], v[102:103], s[2:3], v[80:81]
	v_mul_f64 v[80:81], v[110:111], s[20:21]
	v_add_f64 v[98:99], v[106:107], v[118:119]
	v_add_f64 v[106:107], v[106:107], -v[118:119]
	v_add_f64 v[100:101], v[126:127], v[143:144]
	v_fma_f64 v[146:147], v[112:113], s[20:21], v[86:87]
	v_add_f64 v[86:87], v[130:131], v[139:140]
	v_fma_f64 v[252:253], v[112:113], s[4:5], v[80:81]
	v_add_f64 v[102:103], v[114:115], v[152:153]
	v_add_f64 v[80:81], v[121:122], -v[104:105]
	v_add_f64 v[104:105], v[132:133], -v[141:142]
	;; [unrolled: 1-line block ×4, first 2 shown]
	v_add_f64 v[108:109], v[124:125], v[146:147]
	v_add_f64 v[116:117], v[124:125], -v[146:147]
	v_add_f64 v[110:111], v[137:138], v[252:253]
	v_add_f64 v[118:119], v[137:138], -v[252:253]
	ds_write_b128 v149, v[60:63]
	ds_write_b128 v149, v[64:67] offset:16
	ds_write_b128 v149, v[68:71] offset:32
	ds_write_b128 v149, v[72:75] offset:48
	ds_write_b128 v149, v[76:79] offset:64
	ds_write_b128 v149, v[0:3] offset:80
	ds_write_b128 v149, v[4:7] offset:96
	ds_write_b128 v149, v[20:23] offset:112
	ds_write_b128 v149, v[36:39] offset:128
	ds_write_b128 v149, v[52:55] offset:144
	ds_write_b128 v155, v[12:15]
	ds_write_b128 v155, v[16:19] offset:16
	ds_write_b128 v155, v[28:31] offset:32
	ds_write_b128 v155, v[32:35] offset:48
	ds_write_b128 v155, v[44:47] offset:64
	ds_write_b128 v155, v[8:11] offset:80
	ds_write_b128 v155, v[24:27] offset:96
	ds_write_b128 v155, v[40:43] offset:112
	ds_write_b128 v155, v[48:51] offset:128
	ds_write_b128 v155, v[56:59] offset:144
	;; [unrolled: 10-line block ×3, first 2 shown]
	s_waitcnt lgkmcnt(0)
	s_barrier
	ds_read_b128 v[32:35], v120
	ds_read_b128 v[36:39], v120 offset:16000
	ds_read_b128 v[40:43], v120 offset:32000
	;; [unrolled: 1-line block ×29, first 2 shown]
	buffer_load_dword v0, off, s[36:39], 0 offset:508 ; 4-byte Folded Reload
	buffer_load_dword v1, off, s[36:39], 0 offset:512 ; 4-byte Folded Reload
	;; [unrolled: 1-line block ×4, first 2 shown]
	s_waitcnt vmcnt(0) lgkmcnt(14)
	v_mul_f64 v[121:122], v[2:3], v[38:39]
	v_fma_f64 v[121:122], v[0:1], v[36:37], v[121:122]
	v_mul_f64 v[36:37], v[2:3], v[36:37]
	v_add_f64 v[14:15], v[32:33], v[121:122]
	v_fma_f64 v[36:37], v[0:1], v[38:39], -v[36:37]
	buffer_load_dword v0, off, s[36:39], 0 offset:492 ; 4-byte Folded Reload
	buffer_load_dword v1, off, s[36:39], 0 offset:496 ; 4-byte Folded Reload
	buffer_load_dword v2, off, s[36:39], 0 offset:500 ; 4-byte Folded Reload
	buffer_load_dword v3, off, s[36:39], 0 offset:504 ; 4-byte Folded Reload
	s_waitcnt vmcnt(0)
	v_mul_f64 v[38:39], v[2:3], v[42:43]
	v_fma_f64 v[38:39], v[0:1], v[40:41], v[38:39]
	v_mul_f64 v[40:41], v[2:3], v[40:41]
	v_fma_f64 v[40:41], v[0:1], v[42:43], -v[40:41]
	buffer_load_dword v0, off, s[36:39], 0 offset:540 ; 4-byte Folded Reload
	buffer_load_dword v1, off, s[36:39], 0 offset:544 ; 4-byte Folded Reload
	buffer_load_dword v2, off, s[36:39], 0 offset:548 ; 4-byte Folded Reload
	buffer_load_dword v3, off, s[36:39], 0 offset:552 ; 4-byte Folded Reload
	s_waitcnt vmcnt(0)
	v_mul_f64 v[42:43], v[2:3], v[50:51]
	v_fma_f64 v[42:43], v[0:1], v[48:49], v[42:43]
	v_mul_f64 v[48:49], v[2:3], v[48:49]
	;; [unrolled: 9-line block ×9, first 2 shown]
	v_fma_f64 v[130:131], v[0:1], v[78:79], -v[70:71]
	buffer_load_dword v0, off, s[36:39], 0 offset:664 ; 4-byte Folded Reload
	buffer_load_dword v1, off, s[36:39], 0 offset:668 ; 4-byte Folded Reload
	buffer_load_dword v2, off, s[36:39], 0 offset:672 ; 4-byte Folded Reload
	buffer_load_dword v3, off, s[36:39], 0 offset:676 ; 4-byte Folded Reload
	s_waitcnt vmcnt(0) lgkmcnt(13)
	v_mul_f64 v[70:71], v[2:3], v[82:83]
	v_fma_f64 v[132:133], v[0:1], v[80:81], v[70:71]
	v_mul_f64 v[70:71], v[2:3], v[80:81]
	v_fma_f64 v[134:135], v[0:1], v[82:83], -v[70:71]
	buffer_load_dword v0, off, s[36:39], 0 offset:680 ; 4-byte Folded Reload
	buffer_load_dword v1, off, s[36:39], 0 offset:684 ; 4-byte Folded Reload
	buffer_load_dword v2, off, s[36:39], 0 offset:688 ; 4-byte Folded Reload
	buffer_load_dword v3, off, s[36:39], 0 offset:692 ; 4-byte Folded Reload
	s_waitcnt vmcnt(0) lgkmcnt(12)
	v_mul_f64 v[70:71], v[2:3], v[86:87]
	v_fma_f64 v[137:138], v[0:1], v[84:85], v[70:71]
	v_mul_f64 v[70:71], v[2:3], v[84:85]
	;; [unrolled: 9-line block ×5, first 2 shown]
	v_add_f64 v[96:97], v[14:15], v[38:39]
	v_add_f64 v[14:15], v[121:122], v[38:39]
	v_fma_f64 v[152:153], v[0:1], v[98:99], -v[70:71]
	buffer_load_dword v0, off, s[36:39], 0 offset:896 ; 4-byte Folded Reload
	buffer_load_dword v1, off, s[36:39], 0 offset:900 ; 4-byte Folded Reload
	;; [unrolled: 1-line block ×4, first 2 shown]
	v_fma_f64 v[14:15], v[14:15], -0.5, v[32:33]
	v_add_f64 v[32:33], v[36:37], -v[40:41]
	s_waitcnt vmcnt(0) lgkmcnt(6)
	v_mul_f64 v[70:71], v[2:3], v[102:103]
	v_fma_f64 v[154:155], v[0:1], v[100:101], v[70:71]
	v_mul_f64 v[70:71], v[2:3], v[100:101]
	v_fma_f64 v[100:101], v[32:33], s[22:23], v[14:15]
	v_fma_f64 v[252:253], v[0:1], v[102:103], -v[70:71]
	buffer_load_dword v0, off, s[36:39], 0 offset:920 ; 4-byte Folded Reload
	buffer_load_dword v1, off, s[36:39], 0 offset:924 ; 4-byte Folded Reload
	;; [unrolled: 1-line block ×12, first 2 shown]
	s_waitcnt vmcnt(8) lgkmcnt(4)
	v_mul_f64 v[70:71], v[2:3], v[106:107]
	s_waitcnt vmcnt(0) lgkmcnt(1)
	v_mul_f64 v[6:7], v[74:75], v[114:115]
	v_fma_f64 v[254:255], v[0:1], v[104:105], v[70:71]
	v_mul_f64 v[70:71], v[2:3], v[104:105]
	v_mul_f64 v[2:3], v[12:13], v[110:111]
	v_fma_f64 v[8:9], v[0:1], v[106:107], -v[70:71]
	v_mul_f64 v[70:71], v[12:13], v[108:109]
	v_fma_f64 v[12:13], v[72:73], v[112:113], v[6:7]
	v_fma_f64 v[4:5], v[10:11], v[108:109], v[2:3]
	;; [unrolled: 1-line block ×3, first 2 shown]
	v_add_f64 v[14:15], v[34:35], v[36:37]
	v_add_f64 v[32:33], v[121:122], -v[38:39]
	v_fma_f64 v[0:1], v[10:11], v[110:111], -v[70:71]
	v_mul_f64 v[70:71], v[74:75], v[112:113]
	v_add_f64 v[98:99], v[14:15], v[40:41]
	v_add_f64 v[14:15], v[36:37], v[40:41]
	v_fma_f64 v[6:7], v[72:73], v[114:115], -v[70:71]
	buffer_load_dword v72, off, s[36:39], 0 offset:1036 ; 4-byte Folded Reload
	buffer_load_dword v73, off, s[36:39], 0 offset:1040 ; 4-byte Folded Reload
	;; [unrolled: 1-line block ×4, first 2 shown]
	s_waitcnt vmcnt(0) lgkmcnt(0)
	s_barrier
	v_fma_f64 v[14:15], v[14:15], -0.5, v[34:35]
	v_fma_f64 v[110:111], v[32:33], s[22:23], v[14:15]
	v_fma_f64 v[102:103], v[32:33], s[24:25], v[14:15]
	v_add_f64 v[14:15], v[44:45], v[42:43]
	v_add_f64 v[32:33], v[48:49], -v[52:53]
	v_mul_f64 v[10:11], v[74:75], v[118:119]
	v_mul_f64 v[70:71], v[74:75], v[116:117]
	v_fma_f64 v[10:11], v[72:73], v[116:117], v[10:11]
	v_add_f64 v[116:117], v[14:15], v[50:51]
	v_add_f64 v[14:15], v[42:43], v[50:51]
	v_fma_f64 v[2:3], v[72:73], v[118:119], -v[70:71]
	v_fma_f64 v[14:15], v[14:15], -0.5, v[44:45]
	v_fma_f64 v[112:113], v[32:33], s[24:25], v[14:15]
	v_fma_f64 v[104:105], v[32:33], s[22:23], v[14:15]
	v_add_f64 v[14:15], v[46:47], v[48:49]
	v_add_f64 v[32:33], v[42:43], -v[50:51]
	v_add_f64 v[118:119], v[14:15], v[52:53]
	v_add_f64 v[14:15], v[48:49], v[52:53]
	v_fma_f64 v[14:15], v[14:15], -0.5, v[46:47]
	v_fma_f64 v[114:115], v[32:33], s[22:23], v[14:15]
	v_fma_f64 v[106:107], v[32:33], s[24:25], v[14:15]
	v_add_f64 v[14:15], v[28:29], v[54:55]
	v_add_f64 v[92:93], v[14:15], v[58:59]
	v_add_f64 v[14:15], v[54:55], v[58:59]
	v_fma_f64 v[14:15], v[14:15], -0.5, v[28:29]
	v_add_f64 v[28:29], v[56:57], -v[60:61]
	v_fma_f64 v[88:89], v[28:29], s[24:25], v[14:15]
	v_fma_f64 v[84:85], v[28:29], s[22:23], v[14:15]
	v_add_f64 v[14:15], v[30:31], v[56:57]
	v_add_f64 v[28:29], v[54:55], -v[58:59]
	v_add_f64 v[94:95], v[14:15], v[60:61]
	v_add_f64 v[14:15], v[56:57], v[60:61]
	v_fma_f64 v[14:15], v[14:15], -0.5, v[30:31]
	v_fma_f64 v[90:91], v[28:29], s[22:23], v[14:15]
	v_fma_f64 v[86:87], v[28:29], s[24:25], v[14:15]
	v_add_f64 v[14:15], v[24:25], v[62:63]
	v_add_f64 v[80:81], v[14:15], v[66:67]
	v_add_f64 v[14:15], v[62:63], v[66:67]
	v_fma_f64 v[14:15], v[14:15], -0.5, v[24:25]
	v_add_f64 v[24:25], v[64:65], -v[68:69]
	v_fma_f64 v[76:77], v[24:25], s[24:25], v[14:15]
	v_fma_f64 v[72:73], v[24:25], s[22:23], v[14:15]
	v_add_f64 v[14:15], v[26:27], v[64:65]
	v_add_f64 v[24:25], v[62:63], -v[66:67]
	v_add_f64 v[82:83], v[14:15], v[68:69]
	v_add_f64 v[14:15], v[64:65], v[68:69]
	v_fma_f64 v[14:15], v[14:15], -0.5, v[26:27]
	v_fma_f64 v[78:79], v[24:25], s[22:23], v[14:15]
	v_fma_f64 v[74:75], v[24:25], s[24:25], v[14:15]
	v_add_f64 v[14:15], v[20:21], v[124:125]
	v_add_f64 v[68:69], v[14:15], v[128:129]
	v_add_f64 v[14:15], v[124:125], v[128:129]
	v_fma_f64 v[14:15], v[14:15], -0.5, v[20:21]
	v_add_f64 v[20:21], v[126:127], -v[130:131]
	v_fma_f64 v[64:65], v[20:21], s[24:25], v[14:15]
	v_fma_f64 v[60:61], v[20:21], s[22:23], v[14:15]
	v_add_f64 v[14:15], v[22:23], v[126:127]
	v_add_f64 v[20:21], v[124:125], -v[128:129]
	v_add_f64 v[70:71], v[14:15], v[130:131]
	v_add_f64 v[14:15], v[126:127], v[130:131]
	v_fma_f64 v[14:15], v[14:15], -0.5, v[22:23]
	v_fma_f64 v[66:67], v[20:21], s[22:23], v[14:15]
	v_fma_f64 v[62:63], v[20:21], s[24:25], v[14:15]
	v_add_f64 v[14:15], v[16:17], v[132:133]
	v_add_f64 v[56:57], v[14:15], v[137:138]
	v_add_f64 v[14:15], v[132:133], v[137:138]
	v_fma_f64 v[14:15], v[14:15], -0.5, v[16:17]
	v_add_f64 v[16:17], v[134:135], -v[139:140]
	v_fma_f64 v[52:53], v[16:17], s[24:25], v[14:15]
	v_fma_f64 v[48:49], v[16:17], s[22:23], v[14:15]
	v_add_f64 v[14:15], v[18:19], v[134:135]
	v_add_f64 v[16:17], v[132:133], -v[137:138]
	v_add_f64 v[58:59], v[14:15], v[139:140]
	v_add_f64 v[14:15], v[134:135], v[139:140]
	v_fma_f64 v[14:15], v[14:15], -0.5, v[18:19]
	v_add_f64 v[18:19], v[8:9], -v[0:1]
	v_fma_f64 v[54:55], v[16:17], s[22:23], v[14:15]
	v_fma_f64 v[50:51], v[16:17], s[24:25], v[14:15]
	v_add_f64 v[14:15], v[156:157], v[141:142]
	v_add_f64 v[16:17], v[143:144], -v[148:149]
	v_add_f64 v[44:45], v[14:15], v[146:147]
	v_add_f64 v[14:15], v[141:142], v[146:147]
	v_fma_f64 v[14:15], v[14:15], -0.5, v[156:157]
	v_fma_f64 v[40:41], v[16:17], s[24:25], v[14:15]
	v_fma_f64 v[36:37], v[16:17], s[22:23], v[14:15]
	v_add_f64 v[14:15], v[158:159], v[143:144]
	v_add_f64 v[16:17], v[141:142], -v[146:147]
	v_add_f64 v[46:47], v[14:15], v[148:149]
	v_add_f64 v[14:15], v[143:144], v[148:149]
	v_fma_f64 v[14:15], v[14:15], -0.5, v[158:159]
	;; [unrolled: 7-line block ×4, first 2 shown]
	v_fma_f64 v[30:31], v[16:17], s[22:23], v[14:15]
	v_fma_f64 v[26:27], v[16:17], s[24:25], v[14:15]
	v_add_f64 v[14:15], v[164:165], v[254:255]
	v_add_f64 v[20:21], v[14:15], v[4:5]
	;; [unrolled: 1-line block ×3, first 2 shown]
	v_add_f64 v[4:5], v[254:255], -v[4:5]
	v_fma_f64 v[14:15], v[14:15], -0.5, v[164:165]
	v_fma_f64 v[16:17], v[18:19], s[24:25], v[14:15]
	v_fma_f64 v[128:129], v[18:19], s[22:23], v[14:15]
	v_add_f64 v[14:15], v[166:167], v[8:9]
	v_add_f64 v[22:23], v[14:15], v[0:1]
	;; [unrolled: 1-line block ×3, first 2 shown]
	v_add_f64 v[8:9], v[6:7], -v[2:3]
	v_fma_f64 v[0:1], v[0:1], -0.5, v[166:167]
	v_fma_f64 v[18:19], v[4:5], s[22:23], v[0:1]
	v_fma_f64 v[130:131], v[4:5], s[24:25], v[0:1]
	v_add_f64 v[0:1], v[168:169], v[12:13]
	v_add_f64 v[124:125], v[0:1], v[10:11]
	;; [unrolled: 1-line block ×3, first 2 shown]
	v_fma_f64 v[0:1], v[0:1], -0.5, v[168:169]
	v_fma_f64 v[4:5], v[8:9], s[24:25], v[0:1]
	v_fma_f64 v[0:1], v[8:9], s[22:23], v[0:1]
	v_add_f64 v[8:9], v[170:171], v[6:7]
	v_add_f64 v[126:127], v[8:9], v[2:3]
	v_add_f64 v[2:3], v[6:7], v[2:3]
	v_add_f64 v[8:9], v[12:13], -v[10:11]
	v_fma_f64 v[2:3], v[2:3], -0.5, v[170:171]
	v_fma_f64 v[6:7], v[8:9], s[22:23], v[2:3]
	v_fma_f64 v[2:3], v[8:9], s[24:25], v[2:3]
	buffer_load_dword v8, off, s[36:39], 0 offset:1056 ; 4-byte Folded Reload
	s_waitcnt vmcnt(0)
	ds_write_b128 v8, v[96:99]
	ds_write_b128 v8, v[108:111] offset:160
	ds_write_b128 v8, v[100:103] offset:320
	buffer_load_dword v8, off, s[36:39], 0 offset:1052 ; 4-byte Folded Reload
	s_waitcnt vmcnt(0)
	ds_write_b128 v8, v[116:119]
	ds_write_b128 v8, v[112:115] offset:160
	ds_write_b128 v8, v[104:107] offset:320
	;; [unrolled: 5-line block ×10, first 2 shown]
	s_waitcnt lgkmcnt(0)
	s_barrier
	ds_read_b128 v[8:11], v120
	ds_read_b128 v[12:15], v120 offset:4800
	ds_read_b128 v[16:19], v120 offset:9600
	;; [unrolled: 1-line block ×29, first 2 shown]
	buffer_load_dword v78, off, s[36:39], 0 offset:696 ; 4-byte Folded Reload
	buffer_load_dword v79, off, s[36:39], 0 offset:700 ; 4-byte Folded Reload
	;; [unrolled: 1-line block ×4, first 2 shown]
	s_waitcnt vmcnt(0) lgkmcnt(14)
	v_mul_f64 v[68:69], v[80:81], v[14:15]
	v_fma_f64 v[132:133], v[78:79], v[12:13], v[68:69]
	v_mul_f64 v[12:13], v[80:81], v[12:13]
	v_fma_f64 v[134:135], v[78:79], v[14:15], -v[12:13]
	buffer_load_dword v78, off, s[36:39], 0 offset:712 ; 4-byte Folded Reload
	buffer_load_dword v79, off, s[36:39], 0 offset:716 ; 4-byte Folded Reload
	;; [unrolled: 1-line block ×4, first 2 shown]
	s_waitcnt vmcnt(0)
	v_mul_f64 v[12:13], v[80:81], v[18:19]
	v_fma_f64 v[137:138], v[78:79], v[16:17], v[12:13]
	v_mul_f64 v[12:13], v[80:81], v[16:17]
	buffer_load_dword v14, off, s[36:39], 0 offset:728 ; 4-byte Folded Reload
	buffer_load_dword v15, off, s[36:39], 0 offset:732 ; 4-byte Folded Reload
	;; [unrolled: 1-line block ×4, first 2 shown]
	v_fma_f64 v[139:140], v[78:79], v[18:19], -v[12:13]
	s_waitcnt vmcnt(0)
	v_mul_f64 v[12:13], v[16:17], v[22:23]
	v_fma_f64 v[141:142], v[14:15], v[20:21], v[12:13]
	v_mul_f64 v[12:13], v[16:17], v[20:21]
	v_fma_f64 v[143:144], v[14:15], v[22:23], -v[12:13]
	buffer_load_dword v14, off, s[36:39], 0 offset:744 ; 4-byte Folded Reload
	buffer_load_dword v15, off, s[36:39], 0 offset:748 ; 4-byte Folded Reload
	buffer_load_dword v16, off, s[36:39], 0 offset:752 ; 4-byte Folded Reload
	buffer_load_dword v17, off, s[36:39], 0 offset:756 ; 4-byte Folded Reload
	s_waitcnt vmcnt(0)
	v_mul_f64 v[12:13], v[16:17], v[26:27]
	v_fma_f64 v[154:155], v[14:15], v[24:25], v[12:13]
	v_mul_f64 v[12:13], v[16:17], v[24:25]
	v_fma_f64 v[156:157], v[14:15], v[26:27], -v[12:13]
	buffer_load_dword v14, off, s[36:39], 0 offset:800 ; 4-byte Folded Reload
	buffer_load_dword v15, off, s[36:39], 0 offset:804 ; 4-byte Folded Reload
	buffer_load_dword v16, off, s[36:39], 0 offset:808 ; 4-byte Folded Reload
	buffer_load_dword v17, off, s[36:39], 0 offset:812 ; 4-byte Folded Reload
	;; [unrolled: 9-line block ×8, first 2 shown]
	s_waitcnt vmcnt(0)
	v_mul_f64 v[12:13], v[16:17], v[54:55]
	v_fma_f64 v[84:85], v[14:15], v[52:53], v[12:13]
	v_mul_f64 v[12:13], v[16:17], v[52:53]
	v_add_f64 v[52:53], v[139:140], -v[252:253]
	v_fma_f64 v[80:81], v[14:15], v[54:55], -v[12:13]
	buffer_load_dword v14, off, s[36:39], 0 offset:1020 ; 4-byte Folded Reload
	buffer_load_dword v15, off, s[36:39], 0 offset:1024 ; 4-byte Folded Reload
	;; [unrolled: 1-line block ×4, first 2 shown]
	s_waitcnt vmcnt(0)
	v_mul_f64 v[12:13], v[16:17], v[58:59]
	v_fma_f64 v[44:45], v[14:15], v[56:57], v[12:13]
	v_mul_f64 v[12:13], v[16:17], v[56:57]
	v_add_f64 v[56:57], v[156:157], -v[164:165]
	v_fma_f64 v[40:41], v[14:15], v[58:59], -v[12:13]
	buffer_load_dword v14, off, s[36:39], 0 offset:988 ; 4-byte Folded Reload
	buffer_load_dword v15, off, s[36:39], 0 offset:992 ; 4-byte Folded Reload
	;; [unrolled: 1-line block ×4, first 2 shown]
	v_add_f64 v[58:59], v[137:138], -v[154:155]
	s_waitcnt vmcnt(0)
	v_mul_f64 v[12:13], v[16:17], v[72:73]
	v_fma_f64 v[86:87], v[14:15], v[70:71], v[12:13]
	v_mul_f64 v[12:13], v[16:17], v[70:71]
	v_fma_f64 v[82:83], v[14:15], v[72:73], -v[12:13]
	buffer_load_dword v14, off, s[36:39], 0 offset:1060 ; 4-byte Folded Reload
	buffer_load_dword v15, off, s[36:39], 0 offset:1064 ; 4-byte Folded Reload
	;; [unrolled: 1-line block ×4, first 2 shown]
	s_waitcnt vmcnt(0)
	v_mul_f64 v[12:13], v[16:17], v[76:77]
	v_fma_f64 v[70:71], v[14:15], v[74:75], v[12:13]
	v_mul_f64 v[12:13], v[16:17], v[74:75]
	v_fma_f64 v[42:43], v[14:15], v[76:77], -v[12:13]
	buffer_load_dword v14, off, s[36:39], 0 offset:1076 ; 4-byte Folded Reload
	buffer_load_dword v15, off, s[36:39], 0 offset:1080 ; 4-byte Folded Reload
	;; [unrolled: 1-line block ×4, first 2 shown]
	s_waitcnt vmcnt(0) lgkmcnt(13)
	v_mul_f64 v[12:13], v[16:17], v[94:95]
	v_fma_f64 v[90:91], v[14:15], v[92:93], v[12:13]
	v_mul_f64 v[12:13], v[16:17], v[92:93]
	v_fma_f64 v[88:89], v[14:15], v[94:95], -v[12:13]
	buffer_load_dword v14, off, s[36:39], 0 offset:1108 ; 4-byte Folded Reload
	buffer_load_dword v15, off, s[36:39], 0 offset:1112 ; 4-byte Folded Reload
	;; [unrolled: 1-line block ×4, first 2 shown]
	s_waitcnt vmcnt(0) lgkmcnt(12)
	v_mul_f64 v[12:13], v[16:17], v[98:99]
	v_fma_f64 v[74:75], v[14:15], v[96:97], v[12:13]
	v_mul_f64 v[12:13], v[16:17], v[96:97]
	v_add_f64 v[96:97], v[252:253], -v[164:165]
	v_fma_f64 v[72:73], v[14:15], v[98:99], -v[12:13]
	buffer_load_dword v14, off, s[36:39], 0 offset:1092 ; 4-byte Folded Reload
	buffer_load_dword v15, off, s[36:39], 0 offset:1096 ; 4-byte Folded Reload
	;; [unrolled: 1-line block ×4, first 2 shown]
	v_add_f64 v[98:99], v[164:165], -v[252:253]
	s_waitcnt vmcnt(0) lgkmcnt(11)
	v_mul_f64 v[12:13], v[16:17], v[102:103]
	v_fma_f64 v[94:95], v[14:15], v[100:101], v[12:13]
	v_mul_f64 v[12:13], v[16:17], v[100:101]
	v_fma_f64 v[92:93], v[14:15], v[102:103], -v[12:13]
	buffer_load_dword v14, off, s[36:39], 0 offset:1124 ; 4-byte Folded Reload
	buffer_load_dword v15, off, s[36:39], 0 offset:1128 ; 4-byte Folded Reload
	;; [unrolled: 1-line block ×4, first 2 shown]
	s_waitcnt vmcnt(0) lgkmcnt(10)
	v_mul_f64 v[12:13], v[16:17], v[106:107]
	v_fma_f64 v[78:79], v[14:15], v[104:105], v[12:13]
	v_mul_f64 v[12:13], v[16:17], v[104:105]
	v_fma_f64 v[76:77], v[14:15], v[106:107], -v[12:13]
	buffer_load_dword v14, off, s[36:39], 0 offset:1268 ; 4-byte Folded Reload
	buffer_load_dword v15, off, s[36:39], 0 offset:1272 ; 4-byte Folded Reload
	;; [unrolled: 1-line block ×4, first 2 shown]
	s_waitcnt vmcnt(0) lgkmcnt(8)
	v_mul_f64 v[12:13], v[16:17], v[110:111]
	v_fma_f64 v[20:21], v[14:15], v[108:109], v[12:13]
	v_mul_f64 v[12:13], v[16:17], v[108:109]
	buffer_load_dword v16, off, s[36:39], 0 offset:1284 ; 4-byte Folded Reload
	buffer_load_dword v17, off, s[36:39], 0 offset:1288 ; 4-byte Folded Reload
	buffer_load_dword v18, off, s[36:39], 0 offset:1292 ; 4-byte Folded Reload
	buffer_load_dword v19, off, s[36:39], 0 offset:1296 ; 4-byte Folded Reload
	buffer_load_dword v22, off, s[36:39], 0 offset:1300 ; 4-byte Folded Reload
	buffer_load_dword v23, off, s[36:39], 0 offset:1304 ; 4-byte Folded Reload
	buffer_load_dword v24, off, s[36:39], 0 offset:1308 ; 4-byte Folded Reload
	buffer_load_dword v25, off, s[36:39], 0 offset:1312 ; 4-byte Folded Reload
	v_add_f64 v[108:109], v[160:161], -v[168:169]
	v_fma_f64 v[12:13], v[14:15], v[110:111], -v[12:13]
	v_add_f64 v[110:111], v[141:142], -v[158:159]
	s_waitcnt vmcnt(4) lgkmcnt(7)
	v_mul_f64 v[14:15], v[18:19], v[114:115]
	v_fma_f64 v[36:37], v[16:17], v[112:113], v[14:15]
	v_mul_f64 v[14:15], v[18:19], v[112:113]
	v_add_f64 v[112:113], v[254:255], -v[166:167]
	v_fma_f64 v[32:33], v[16:17], v[114:115], -v[14:15]
	s_waitcnt vmcnt(0) lgkmcnt(6)
	v_mul_f64 v[14:15], v[24:25], v[118:119]
	v_add_f64 v[110:111], v[110:111], v[112:113]
	v_add_f64 v[114:115], v[158:159], -v[141:142]
	v_fma_f64 v[18:19], v[22:23], v[116:117], v[14:15]
	v_mul_f64 v[14:15], v[24:25], v[116:117]
	v_add_f64 v[116:117], v[166:167], -v[254:255]
	v_fma_f64 v[14:15], v[22:23], v[118:119], -v[14:15]
	buffer_load_dword v22, off, s[36:39], 0 offset:1316 ; 4-byte Folded Reload
	buffer_load_dword v23, off, s[36:39], 0 offset:1320 ; 4-byte Folded Reload
	;; [unrolled: 1-line block ×12, first 2 shown]
	v_add_f64 v[114:115], v[114:115], v[116:117]
	v_add_f64 v[116:117], v[143:144], -v[160:161]
	s_waitcnt vmcnt(8) lgkmcnt(5)
	v_mul_f64 v[16:17], v[24:25], v[126:127]
	v_fma_f64 v[100:101], v[22:23], v[124:125], v[16:17]
	v_mul_f64 v[16:17], v[24:25], v[124:125]
	v_add_f64 v[124:125], v[46:47], -v[168:169]
	v_fma_f64 v[34:35], v[22:23], v[126:127], -v[16:17]
	s_waitcnt vmcnt(4) lgkmcnt(3)
	v_mul_f64 v[22:23], v[28:29], v[148:149]
	v_mul_f64 v[16:17], v[250:251], v[130:131]
	v_add_f64 v[116:117], v[116:117], v[124:125]
	v_fma_f64 v[104:105], v[26:27], v[146:147], v[22:23]
	v_mul_f64 v[22:23], v[28:29], v[146:147]
	v_fma_f64 v[24:25], v[248:249], v[128:129], v[16:17]
	v_mul_f64 v[16:17], v[250:251], v[128:129]
	v_fma_f64 v[38:39], v[26:27], v[148:149], -v[22:23]
	s_waitcnt vmcnt(0) lgkmcnt(2)
	v_mul_f64 v[22:23], v[50:51], v[152:153]
	v_fma_f64 v[16:17], v[248:249], v[130:131], -v[16:17]
	v_fma_f64 v[28:29], v[48:49], v[150:151], v[22:23]
	v_mul_f64 v[22:23], v[50:51], v[150:151]
	v_fma_f64 v[22:23], v[48:49], v[152:153], -v[22:23]
	buffer_load_dword v48, off, s[36:39], 0 offset:1380 ; 4-byte Folded Reload
	buffer_load_dword v49, off, s[36:39], 0 offset:1384 ; 4-byte Folded Reload
	;; [unrolled: 1-line block ×4, first 2 shown]
	s_waitcnt vmcnt(0) lgkmcnt(0)
	s_barrier
	v_mul_f64 v[26:27], v[50:51], v[62:63]
	v_fma_f64 v[106:107], v[48:49], v[60:61], v[26:27]
	v_mul_f64 v[26:27], v[50:51], v[60:61]
	v_add_f64 v[50:51], v[154:155], v[162:163]
	v_add_f64 v[60:61], v[170:171], -v[162:163]
	v_fma_f64 v[102:103], v[48:49], v[62:63], -v[26:27]
	v_fma_f64 v[50:51], v[50:51], -0.5, v[8:9]
	v_add_f64 v[58:59], v[58:59], v[60:61]
	v_add_f64 v[48:49], v[8:9], v[137:138]
	v_add_f64 v[60:61], v[154:155], -v[137:138]
	v_add_f64 v[62:63], v[162:163], -v[170:171]
	v_mul_f64 v[26:27], v[238:239], v[66:67]
	v_fma_f64 v[54:55], v[52:53], s[8:9], v[50:51]
	v_fma_f64 v[50:51], v[52:53], s[2:3], v[50:51]
	v_add_f64 v[48:49], v[48:49], v[154:155]
	v_add_f64 v[60:61], v[60:61], v[62:63]
	v_fma_f64 v[30:31], v[236:237], v[64:65], v[26:27]
	v_mul_f64 v[26:27], v[238:239], v[64:65]
	v_add_f64 v[64:65], v[154:155], -v[162:163]
	v_fma_f64 v[54:55], v[56:57], s[14:15], v[54:55]
	v_fma_f64 v[50:51], v[56:57], s[4:5], v[50:51]
	v_add_f64 v[48:49], v[48:49], v[162:163]
	v_fma_f64 v[26:27], v[236:237], v[66:67], -v[26:27]
	v_add_f64 v[66:67], v[139:140], -v[156:157]
	v_fma_f64 v[54:55], v[58:59], s[6:7], v[54:55]
	v_fma_f64 v[50:51], v[58:59], s[6:7], v[50:51]
	v_add_f64 v[58:59], v[137:138], v[170:171]
	v_add_f64 v[48:49], v[48:49], v[170:171]
	;; [unrolled: 1-line block ×3, first 2 shown]
	v_add_f64 v[96:97], v[156:157], -v[139:140]
	v_fma_f64 v[8:9], v[58:59], -0.5, v[8:9]
	v_add_f64 v[96:97], v[96:97], v[98:99]
	v_fma_f64 v[58:59], v[56:57], s[2:3], v[8:9]
	v_fma_f64 v[8:9], v[56:57], s[8:9], v[8:9]
	v_add_f64 v[56:57], v[137:138], -v[170:171]
	v_fma_f64 v[58:59], v[52:53], s[14:15], v[58:59]
	v_fma_f64 v[8:9], v[52:53], s[4:5], v[8:9]
	;; [unrolled: 1-line block ×4, first 2 shown]
	v_add_f64 v[8:9], v[10:11], v[139:140]
	v_add_f64 v[8:9], v[8:9], v[156:157]
	;; [unrolled: 1-line block ×5, first 2 shown]
	v_fma_f64 v[8:9], v[8:9], -0.5, v[10:11]
	v_fma_f64 v[62:63], v[56:57], s[2:3], v[8:9]
	v_fma_f64 v[8:9], v[56:57], s[8:9], v[8:9]
	;; [unrolled: 1-line block ×6, first 2 shown]
	v_add_f64 v[66:67], v[139:140], v[252:253]
	v_fma_f64 v[10:11], v[66:67], -0.5, v[10:11]
	v_fma_f64 v[66:67], v[64:65], s[8:9], v[10:11]
	v_fma_f64 v[10:11], v[64:65], s[2:3], v[10:11]
	v_add_f64 v[64:65], v[158:159], v[166:167]
	v_fma_f64 v[66:67], v[56:57], s[4:5], v[66:67]
	v_fma_f64 v[10:11], v[56:57], s[14:15], v[10:11]
	v_fma_f64 v[64:65], v[64:65], -0.5, v[132:133]
	v_add_f64 v[56:57], v[132:133], v[141:142]
	v_fma_f64 v[66:67], v[96:97], s[6:7], v[66:67]
	v_fma_f64 v[10:11], v[96:97], s[6:7], v[10:11]
	v_add_f64 v[96:97], v[143:144], -v[46:47]
	v_add_f64 v[56:57], v[56:57], v[158:159]
	v_fma_f64 v[98:99], v[96:97], s[8:9], v[64:65]
	v_fma_f64 v[64:65], v[96:97], s[2:3], v[64:65]
	v_add_f64 v[56:57], v[56:57], v[166:167]
	v_fma_f64 v[98:99], v[108:109], s[14:15], v[98:99]
	v_fma_f64 v[64:65], v[108:109], s[4:5], v[64:65]
	;; [unrolled: 3-line block ×3, first 2 shown]
	v_add_f64 v[110:111], v[141:142], v[254:255]
	v_add_f64 v[152:153], v[48:49], -v[56:57]
	v_fma_f64 v[110:111], v[110:111], -0.5, v[132:133]
	v_add_f64 v[132:133], v[48:49], v[56:57]
	v_fma_f64 v[112:113], v[108:109], s[2:3], v[110:111]
	v_fma_f64 v[108:109], v[108:109], s[8:9], v[110:111]
	v_add_f64 v[110:111], v[141:142], -v[254:255]
	v_fma_f64 v[112:113], v[96:97], s[14:15], v[112:113]
	v_fma_f64 v[96:97], v[96:97], s[4:5], v[108:109]
	v_add_f64 v[108:109], v[134:135], v[143:144]
	v_fma_f64 v[118:119], v[114:115], s[6:7], v[112:113]
	v_fma_f64 v[96:97], v[114:115], s[6:7], v[96:97]
	v_add_f64 v[108:109], v[108:109], v[160:161]
	v_add_f64 v[114:115], v[158:159], -v[166:167]
	v_add_f64 v[108:109], v[108:109], v[168:169]
	v_add_f64 v[128:129], v[108:109], v[46:47]
	;; [unrolled: 1-line block ×3, first 2 shown]
	v_add_f64 v[154:155], v[60:61], -v[128:129]
	v_fma_f64 v[108:109], v[108:109], -0.5, v[134:135]
	v_fma_f64 v[112:113], v[110:111], s[2:3], v[108:109]
	v_fma_f64 v[108:109], v[110:111], s[8:9], v[108:109]
	;; [unrolled: 1-line block ×6, first 2 shown]
	v_add_f64 v[108:109], v[143:144], v[46:47]
	v_add_f64 v[116:117], v[160:161], -v[143:144]
	v_add_f64 v[46:47], v[168:169], -v[46:47]
	v_fma_f64 v[108:109], v[108:109], -0.5, v[134:135]
	v_add_f64 v[134:135], v[60:61], v[128:129]
	v_add_f64 v[46:47], v[116:117], v[46:47]
	v_fma_f64 v[112:113], v[114:115], s[8:9], v[108:109]
	v_fma_f64 v[108:109], v[114:115], s[2:3], v[108:109]
	;; [unrolled: 1-line block ×4, first 2 shown]
	v_mul_f64 v[110:111], v[126:127], s[16:17]
	v_fma_f64 v[137:138], v[46:47], s[6:7], v[112:113]
	v_fma_f64 v[46:47], v[46:47], s[6:7], v[108:109]
	v_mul_f64 v[108:109], v[126:127], s[14:15]
	v_fma_f64 v[139:140], v[98:99], s[16:17], v[108:109]
	v_mul_f64 v[108:109], v[137:138], s[8:9]
	;; [unrolled: 2-line block ×3, first 2 shown]
	v_add_f64 v[124:125], v[54:55], v[139:140]
	v_fma_f64 v[141:142], v[118:119], s[6:7], v[108:109]
	v_mul_f64 v[108:109], v[46:47], s[8:9]
	v_mul_f64 v[46:47], v[46:47], s[18:19]
	v_fma_f64 v[137:138], v[118:119], s[2:3], v[110:111]
	v_add_f64 v[148:149], v[54:55], -v[139:140]
	v_add_f64 v[126:127], v[62:63], v[98:99]
	v_add_f64 v[150:151], v[62:63], -v[98:99]
	v_add_f64 v[62:63], v[82:83], -v[88:89]
	v_add_f64 v[112:113], v[58:59], v[141:142]
	v_fma_f64 v[143:144], v[96:97], s[18:19], v[108:109]
	v_fma_f64 v[46:47], v[96:97], s[2:3], v[46:47]
	v_mul_f64 v[108:109], v[130:131], s[14:15]
	v_mul_f64 v[96:97], v[130:131], s[20:21]
	v_add_f64 v[114:115], v[66:67], v[137:138]
	v_add_f64 v[56:57], v[58:59], -v[141:142]
	v_add_f64 v[58:59], v[66:67], -v[137:138]
	;; [unrolled: 1-line block ×3, first 2 shown]
	v_add_f64 v[116:117], v[52:53], v[143:144]
	v_add_f64 v[118:119], v[10:11], v[46:47]
	v_add_f64 v[54:55], v[10:11], -v[46:47]
	v_add_f64 v[10:11], v[86:87], v[90:91]
	v_fma_f64 v[146:147], v[64:65], s[20:21], v[108:109]
	v_fma_f64 v[64:65], v[64:65], s[4:5], v[96:97]
	v_add_f64 v[46:47], v[80:81], -v[92:93]
	v_add_f64 v[96:97], v[90:91], -v[94:95]
	;; [unrolled: 1-line block ×3, first 2 shown]
	v_fma_f64 v[10:11], v[10:11], -0.5, v[4:5]
	v_add_f64 v[108:109], v[50:51], v[146:147]
	v_add_f64 v[110:111], v[8:9], v[64:65]
	v_add_f64 v[48:49], v[50:51], -v[146:147]
	v_add_f64 v[50:51], v[8:9], -v[64:65]
	;; [unrolled: 1-line block ×3, first 2 shown]
	v_add_f64 v[8:9], v[4:5], v[84:85]
	v_fma_f64 v[60:61], v[46:47], s[8:9], v[10:11]
	v_fma_f64 v[10:11], v[46:47], s[2:3], v[10:11]
	v_add_f64 v[64:65], v[64:65], v[66:67]
	v_add_f64 v[66:67], v[86:87], -v[84:85]
	v_add_f64 v[8:9], v[8:9], v[86:87]
	v_fma_f64 v[60:61], v[62:63], s[14:15], v[60:61]
	v_fma_f64 v[10:11], v[62:63], s[4:5], v[10:11]
	v_add_f64 v[86:87], v[86:87], -v[90:91]
	v_add_f64 v[66:67], v[66:67], v[96:97]
	v_add_f64 v[8:9], v[8:9], v[90:91]
	v_fma_f64 v[60:61], v[64:65], s[6:7], v[60:61]
	v_fma_f64 v[10:11], v[64:65], s[6:7], v[10:11]
	v_add_f64 v[64:65], v[84:85], v[94:95]
	v_add_f64 v[90:91], v[80:81], -v[82:83]
	v_add_f64 v[8:9], v[8:9], v[94:95]
	v_fma_f64 v[4:5], v[64:65], -0.5, v[4:5]
	v_fma_f64 v[64:65], v[62:63], s[2:3], v[4:5]
	v_fma_f64 v[4:5], v[62:63], s[8:9], v[4:5]
	v_add_f64 v[62:63], v[82:83], v[88:89]
	v_fma_f64 v[64:65], v[46:47], s[14:15], v[64:65]
	v_fma_f64 v[4:5], v[46:47], s[4:5], v[4:5]
	v_fma_f64 v[62:63], v[62:63], -0.5, v[6:7]
	v_add_f64 v[46:47], v[6:7], v[80:81]
	v_fma_f64 v[64:65], v[66:67], s[6:7], v[64:65]
	v_fma_f64 v[4:5], v[66:67], s[6:7], v[4:5]
	v_add_f64 v[66:67], v[84:85], -v[94:95]
	v_add_f64 v[94:95], v[92:93], -v[88:89]
	v_add_f64 v[46:47], v[46:47], v[82:83]
	v_fma_f64 v[84:85], v[66:67], s[2:3], v[62:63]
	v_add_f64 v[90:91], v[90:91], v[94:95]
	v_fma_f64 v[62:63], v[66:67], s[8:9], v[62:63]
	;; [unrolled: 2-line block ×3, first 2 shown]
	v_fma_f64 v[62:63], v[86:87], s[14:15], v[62:63]
	v_add_f64 v[46:47], v[46:47], v[92:93]
	v_fma_f64 v[128:129], v[90:91], s[6:7], v[84:85]
	v_add_f64 v[84:85], v[80:81], v[92:93]
	v_add_f64 v[80:81], v[82:83], -v[80:81]
	v_add_f64 v[82:83], v[88:89], -v[92:93]
	v_fma_f64 v[62:63], v[90:91], s[6:7], v[62:63]
	v_add_f64 v[88:89], v[44:45], -v[70:71]
	v_add_f64 v[90:91], v[78:79], -v[74:75]
	v_fma_f64 v[6:7], v[84:85], -0.5, v[6:7]
	v_add_f64 v[80:81], v[80:81], v[82:83]
	v_add_f64 v[82:83], v[40:41], -v[76:77]
	v_add_f64 v[88:89], v[88:89], v[90:91]
	v_add_f64 v[90:91], v[74:75], -v[78:79]
	v_fma_f64 v[84:85], v[86:87], s[8:9], v[6:7]
	v_fma_f64 v[6:7], v[86:87], s[2:3], v[6:7]
	v_add_f64 v[86:87], v[42:43], -v[72:73]
	v_fma_f64 v[84:85], v[66:67], s[4:5], v[84:85]
	v_fma_f64 v[6:7], v[66:67], s[14:15], v[6:7]
	v_add_f64 v[66:67], v[68:69], v[44:45]
	v_fma_f64 v[130:131], v[80:81], s[6:7], v[84:85]
	v_fma_f64 v[6:7], v[80:81], s[6:7], v[6:7]
	v_add_f64 v[80:81], v[70:71], v[74:75]
	v_add_f64 v[66:67], v[66:67], v[70:71]
	v_fma_f64 v[80:81], v[80:81], -0.5, v[68:69]
	v_add_f64 v[66:67], v[66:67], v[74:75]
	v_fma_f64 v[84:85], v[82:83], s[8:9], v[80:81]
	v_fma_f64 v[80:81], v[82:83], s[2:3], v[80:81]
	v_add_f64 v[66:67], v[66:67], v[78:79]
	v_fma_f64 v[84:85], v[86:87], s[14:15], v[84:85]
	v_fma_f64 v[80:81], v[86:87], s[4:5], v[80:81]
	;; [unrolled: 3-line block ×3, first 2 shown]
	v_add_f64 v[80:81], v[44:45], v[78:79]
	v_add_f64 v[88:89], v[70:71], -v[44:45]
	v_add_f64 v[44:45], v[44:45], -v[78:79]
	;; [unrolled: 1-line block ×3, first 2 shown]
	v_fma_f64 v[68:69], v[80:81], -0.5, v[68:69]
	v_add_f64 v[88:89], v[88:89], v[90:91]
	v_fma_f64 v[80:81], v[86:87], s[2:3], v[68:69]
	v_fma_f64 v[68:69], v[86:87], s[8:9], v[68:69]
	;; [unrolled: 1-line block ×6, first 2 shown]
	v_add_f64 v[68:69], v[121:122], v[40:41]
	v_add_f64 v[80:81], v[76:77], -v[72:73]
	v_add_f64 v[68:69], v[68:69], v[42:43]
	v_add_f64 v[68:69], v[68:69], v[72:73]
	;; [unrolled: 1-line block ×5, first 2 shown]
	v_fma_f64 v[68:69], v[68:69], -0.5, v[121:122]
	v_fma_f64 v[78:79], v[44:45], s[2:3], v[68:69]
	v_fma_f64 v[68:69], v[44:45], s[8:9], v[68:69]
	;; [unrolled: 1-line block ×3, first 2 shown]
	v_add_f64 v[78:79], v[40:41], -v[42:43]
	v_fma_f64 v[68:69], v[70:71], s[14:15], v[68:69]
	v_add_f64 v[78:79], v[78:79], v[80:81]
	v_fma_f64 v[139:140], v[78:79], s[6:7], v[68:69]
	v_add_f64 v[68:69], v[40:41], v[76:77]
	v_fma_f64 v[74:75], v[78:79], s[6:7], v[74:75]
	v_add_f64 v[40:41], v[42:43], -v[40:41]
	v_add_f64 v[42:43], v[72:73], -v[76:77]
	v_fma_f64 v[68:69], v[68:69], -0.5, v[121:122]
	v_add_f64 v[40:41], v[40:41], v[42:43]
	v_fma_f64 v[78:79], v[70:71], s[8:9], v[68:69]
	v_fma_f64 v[68:69], v[70:71], s[2:3], v[68:69]
	v_mul_f64 v[70:71], v[74:75], s[16:17]
	v_fma_f64 v[78:79], v[44:45], s[4:5], v[78:79]
	v_fma_f64 v[44:45], v[44:45], s[14:15], v[68:69]
	;; [unrolled: 1-line block ×4, first 2 shown]
	v_mul_f64 v[44:45], v[74:75], s[14:15]
	v_fma_f64 v[74:75], v[84:85], s[4:5], v[70:71]
	v_mul_f64 v[70:71], v[139:140], s[20:21]
	v_mul_f64 v[68:69], v[42:43], s[8:9]
	;; [unrolled: 1-line block ×3, first 2 shown]
	v_fma_f64 v[44:45], v[84:85], s[16:17], v[44:45]
	v_add_f64 v[90:91], v[128:129], v[74:75]
	v_fma_f64 v[72:73], v[98:99], s[6:7], v[68:69]
	v_mul_f64 v[68:69], v[40:41], s[8:9]
	v_mul_f64 v[40:41], v[40:41], s[18:19]
	v_fma_f64 v[42:43], v[98:99], s[2:3], v[42:43]
	v_add_f64 v[88:89], v[60:61], v[44:45]
	v_add_f64 v[84:85], v[60:61], -v[44:45]
	v_add_f64 v[44:45], v[106:107], -v[104:105]
	;; [unrolled: 1-line block ×3, first 2 shown]
	v_add_f64 v[80:81], v[64:65], v[72:73]
	v_fma_f64 v[121:122], v[86:87], s[18:19], v[68:69]
	v_mul_f64 v[68:69], v[139:140], s[14:15]
	v_fma_f64 v[40:41], v[86:87], s[2:3], v[40:41]
	v_fma_f64 v[139:140], v[96:97], s[4:5], v[70:71]
	v_add_f64 v[82:83], v[130:131], v[42:43]
	v_add_f64 v[86:87], v[128:129], -v[74:75]
	v_add_f64 v[74:75], v[130:131], -v[42:43]
	;; [unrolled: 1-line block ×3, first 2 shown]
	v_add_f64 v[76:77], v[4:5], v[121:122]
	v_fma_f64 v[141:142], v[96:97], s[20:21], v[68:69]
	v_add_f64 v[78:79], v[6:7], v[40:41]
	v_add_f64 v[96:97], v[8:9], -v[66:67]
	v_add_f64 v[66:67], v[6:7], -v[40:41]
	v_add_f64 v[6:7], v[100:101], v[104:105]
	v_add_f64 v[8:9], v[32:33], -v[102:103]
	v_add_f64 v[40:41], v[34:35], -v[38:39]
	v_add_f64 v[42:43], v[42:43], v[44:45]
	v_add_f64 v[68:69], v[10:11], v[141:142]
	v_add_f64 v[60:61], v[10:11], -v[141:142]
	v_add_f64 v[72:73], v[64:65], -v[72:73]
	;; [unrolled: 1-line block ×3, first 2 shown]
	v_fma_f64 v[6:7], v[6:7], -0.5, v[0:1]
	v_add_f64 v[4:5], v[0:1], v[36:37]
	v_add_f64 v[46:47], v[104:105], -v[106:107]
	v_add_f64 v[70:71], v[62:63], v[139:140]
	v_add_f64 v[62:63], v[62:63], -v[139:140]
	v_fma_f64 v[10:11], v[8:9], s[8:9], v[6:7]
	v_fma_f64 v[6:7], v[8:9], s[2:3], v[6:7]
	v_add_f64 v[4:5], v[4:5], v[100:101]
	v_fma_f64 v[10:11], v[40:41], s[14:15], v[10:11]
	v_fma_f64 v[6:7], v[40:41], s[4:5], v[6:7]
	v_add_f64 v[4:5], v[4:5], v[104:105]
	v_fma_f64 v[44:45], v[42:43], s[6:7], v[10:11]
	v_add_f64 v[10:11], v[36:37], v[106:107]
	v_fma_f64 v[6:7], v[42:43], s[6:7], v[6:7]
	v_add_f64 v[42:43], v[100:101], -v[36:37]
	v_add_f64 v[4:5], v[4:5], v[106:107]
	v_fma_f64 v[0:1], v[10:11], -0.5, v[0:1]
	v_add_f64 v[42:43], v[42:43], v[46:47]
	v_fma_f64 v[10:11], v[40:41], s[2:3], v[0:1]
	v_fma_f64 v[0:1], v[40:41], s[8:9], v[0:1]
	;; [unrolled: 1-line block ×4, first 2 shown]
	v_add_f64 v[8:9], v[2:3], v[32:33]
	v_fma_f64 v[46:47], v[42:43], s[6:7], v[10:11]
	v_add_f64 v[10:11], v[36:37], -v[106:107]
	v_add_f64 v[8:9], v[8:9], v[34:35]
	v_fma_f64 v[0:1], v[42:43], s[6:7], v[0:1]
	v_add_f64 v[42:43], v[100:101], -v[104:105]
	v_add_f64 v[100:101], v[32:33], -v[34:35]
	;; [unrolled: 1-line block ×4, first 2 shown]
	v_add_f64 v[8:9], v[8:9], v[38:39]
	v_add_f64 v[100:101], v[100:101], v[104:105]
	;; [unrolled: 1-line block ×4, first 2 shown]
	v_fma_f64 v[8:9], v[8:9], -0.5, v[2:3]
	v_fma_f64 v[36:37], v[10:11], s[2:3], v[8:9]
	v_fma_f64 v[8:9], v[10:11], s[8:9], v[8:9]
	;; [unrolled: 1-line block ×6, first 2 shown]
	v_add_f64 v[8:9], v[32:33], v[102:103]
	v_add_f64 v[32:33], v[34:35], -v[32:33]
	v_add_f64 v[34:35], v[38:39], -v[102:103]
	;; [unrolled: 1-line block ×3, first 2 shown]
	v_fma_f64 v[2:3], v[8:9], -0.5, v[2:3]
	v_add_f64 v[32:33], v[32:33], v[34:35]
	v_add_f64 v[34:35], v[16:17], -v[22:23]
	v_fma_f64 v[8:9], v[42:43], s[8:9], v[2:3]
	v_fma_f64 v[2:3], v[42:43], s[2:3], v[2:3]
	v_add_f64 v[42:43], v[30:31], -v[28:29]
	v_fma_f64 v[8:9], v[10:11], s[4:5], v[8:9]
	v_fma_f64 v[2:3], v[10:11], s[14:15], v[2:3]
	v_add_f64 v[10:11], v[14:15], -v[26:27]
	v_add_f64 v[38:39], v[38:39], v[42:43]
	v_fma_f64 v[102:103], v[32:33], s[6:7], v[8:9]
	v_add_f64 v[8:9], v[20:21], v[18:19]
	v_fma_f64 v[2:3], v[32:33], s[6:7], v[2:3]
	v_add_f64 v[8:9], v[8:9], v[24:25]
	v_add_f64 v[8:9], v[8:9], v[28:29]
	;; [unrolled: 1-line block ×4, first 2 shown]
	v_fma_f64 v[8:9], v[8:9], -0.5, v[20:21]
	v_fma_f64 v[32:33], v[10:11], s[8:9], v[8:9]
	v_fma_f64 v[8:9], v[10:11], s[2:3], v[8:9]
	;; [unrolled: 1-line block ×6, first 2 shown]
	v_add_f64 v[8:9], v[18:19], v[30:31]
	v_add_f64 v[32:33], v[24:25], -v[18:19]
	v_add_f64 v[18:19], v[18:19], -v[30:31]
	;; [unrolled: 1-line block ×5, first 2 shown]
	v_fma_f64 v[8:9], v[8:9], -0.5, v[20:21]
	v_add_f64 v[32:33], v[32:33], v[106:107]
	v_add_f64 v[28:29], v[28:29], v[30:31]
	v_fma_f64 v[20:21], v[34:35], s[2:3], v[8:9]
	v_fma_f64 v[8:9], v[34:35], s[8:9], v[8:9]
	;; [unrolled: 1-line block ×6, first 2 shown]
	v_add_f64 v[8:9], v[12:13], v[14:15]
	v_add_f64 v[32:33], v[4:5], v[36:37]
	v_add_f64 v[36:37], v[4:5], -v[36:37]
	v_add_f64 v[8:9], v[8:9], v[16:17]
	v_add_f64 v[8:9], v[8:9], v[22:23]
	;; [unrolled: 1-line block ×5, first 2 shown]
	v_fma_f64 v[8:9], v[8:9], -0.5, v[12:13]
	v_fma_f64 v[20:21], v[18:19], s[2:3], v[8:9]
	v_fma_f64 v[8:9], v[18:19], s[8:9], v[8:9]
	;; [unrolled: 1-line block ×6, first 2 shown]
	v_add_f64 v[8:9], v[14:15], v[26:27]
	v_add_f64 v[14:15], v[16:17], -v[14:15]
	v_add_f64 v[16:17], v[22:23], -v[26:27]
	v_fma_f64 v[8:9], v[8:9], -0.5, v[12:13]
	v_add_f64 v[14:15], v[14:15], v[16:17]
	v_fma_f64 v[12:13], v[24:25], s[8:9], v[8:9]
	v_fma_f64 v[8:9], v[24:25], s[2:3], v[8:9]
	;; [unrolled: 1-line block ×4, first 2 shown]
	v_mul_f64 v[18:19], v[30:31], s[16:17]
	v_fma_f64 v[12:13], v[14:15], s[6:7], v[12:13]
	v_fma_f64 v[14:15], v[14:15], s[6:7], v[8:9]
	v_mul_f64 v[8:9], v[30:31], s[14:15]
	v_fma_f64 v[24:25], v[42:43], s[16:17], v[8:9]
	v_mul_f64 v[8:9], v[12:13], s[8:9]
	v_mul_f64 v[12:13], v[12:13], s[6:7]
	v_fma_f64 v[42:43], v[42:43], s[4:5], v[18:19]
	v_add_f64 v[28:29], v[44:45], v[24:25]
	v_fma_f64 v[26:27], v[106:107], s[6:7], v[8:9]
	v_mul_f64 v[8:9], v[14:15], s[8:9]
	v_fma_f64 v[106:107], v[106:107], s[2:3], v[12:13]
	v_mul_f64 v[12:13], v[14:15], s[18:19]
	v_add_f64 v[30:31], v[104:105], v[42:43]
	v_add_f64 v[24:25], v[44:45], -v[24:25]
	v_add_f64 v[20:21], v[46:47], v[26:27]
	v_fma_f64 v[130:131], v[10:11], s[18:19], v[8:9]
	v_mul_f64 v[8:9], v[128:129], s[14:15]
	v_fma_f64 v[139:140], v[10:11], s[2:3], v[12:13]
	v_mul_f64 v[10:11], v[128:129], s[20:21]
	v_add_f64 v[22:23], v[102:103], v[106:107]
	v_add_f64 v[12:13], v[46:47], -v[26:27]
	v_add_f64 v[26:27], v[104:105], -v[42:43]
	;; [unrolled: 1-line block ×3, first 2 shown]
	v_add_f64 v[16:17], v[0:1], v[130:131]
	v_fma_f64 v[137:138], v[38:39], s[20:21], v[8:9]
	v_add_f64 v[18:19], v[2:3], v[139:140]
	v_fma_f64 v[128:129], v[38:39], s[4:5], v[10:11]
	v_add_f64 v[4:5], v[0:1], -v[130:131]
	v_add_f64 v[38:39], v[40:41], -v[121:122]
	v_add_f64 v[8:9], v[6:7], v[137:138]
	v_add_f64 v[0:1], v[6:7], -v[137:138]
	v_add_f64 v[10:11], v[100:101], v[128:129]
	v_add_f64 v[6:7], v[2:3], -v[139:140]
	v_add_f64 v[2:3], v[100:101], -v[128:129]
	ds_write_b128 v145, v[132:135]
	ds_write_b128 v145, v[124:127] offset:480
	ds_write_b128 v145, v[112:115] offset:960
	ds_write_b128 v145, v[116:119] offset:1440
	ds_write_b128 v145, v[108:111] offset:1920
	ds_write_b128 v145, v[152:155] offset:2400
	ds_write_b128 v145, v[148:151] offset:2880
	ds_write_b128 v145, v[56:59] offset:3360
	ds_write_b128 v145, v[52:55] offset:3840
	ds_write_b128 v145, v[48:51] offset:4320
	ds_write_b128 v123, v[92:95]
	ds_write_b128 v123, v[88:91] offset:480
	ds_write_b128 v123, v[80:83] offset:960
	ds_write_b128 v123, v[76:79] offset:1440
	ds_write_b128 v123, v[68:71] offset:1920
	ds_write_b128 v123, v[96:99] offset:2400
	ds_write_b128 v123, v[84:87] offset:2880
	ds_write_b128 v123, v[72:75] offset:3360
	ds_write_b128 v123, v[64:67] offset:3840
	ds_write_b128 v123, v[60:63] offset:4320
	;; [unrolled: 10-line block ×3, first 2 shown]
	s_waitcnt lgkmcnt(0)
	s_barrier
	ds_read_b128 v[4:7], v120
	ds_read_b128 v[12:15], v120 offset:4800
	ds_read_b128 v[16:19], v120 offset:9600
	;; [unrolled: 1-line block ×29, first 2 shown]
	buffer_load_dword v64, off, s[36:39], 0 offset:1172 ; 4-byte Folded Reload
	buffer_load_dword v65, off, s[36:39], 0 offset:1176 ; 4-byte Folded Reload
	;; [unrolled: 1-line block ×4, first 2 shown]
	s_waitcnt vmcnt(0) lgkmcnt(14)
	v_mul_f64 v[20:21], v[66:67], v[14:15]
	v_fma_f64 v[42:43], v[64:65], v[12:13], v[20:21]
	v_mul_f64 v[12:13], v[66:67], v[12:13]
	v_fma_f64 v[12:13], v[64:65], v[14:15], -v[12:13]
	buffer_load_dword v64, off, s[36:39], 0 offset:1188 ; 4-byte Folded Reload
	buffer_load_dword v65, off, s[36:39], 0 offset:1192 ; 4-byte Folded Reload
	;; [unrolled: 1-line block ×4, first 2 shown]
	s_waitcnt vmcnt(0)
	v_mul_f64 v[14:15], v[66:67], v[18:19]
	v_fma_f64 v[137:138], v[64:65], v[16:17], v[14:15]
	v_mul_f64 v[14:15], v[66:67], v[16:17]
	v_fma_f64 v[139:140], v[64:65], v[18:19], -v[14:15]
	buffer_load_dword v16, off, s[36:39], 0 offset:1156 ; 4-byte Folded Reload
	buffer_load_dword v17, off, s[36:39], 0 offset:1160 ; 4-byte Folded Reload
	;; [unrolled: 1-line block ×8, first 2 shown]
	s_waitcnt vmcnt(4)
	v_mul_f64 v[14:15], v[18:19], v[24:25]
	v_fma_f64 v[20:21], v[16:17], v[22:23], v[14:15]
	v_mul_f64 v[14:15], v[18:19], v[22:23]
	v_fma_f64 v[14:15], v[16:17], v[24:25], -v[14:15]
	s_waitcnt vmcnt(0)
	v_mul_f64 v[16:17], v[66:67], v[28:29]
	v_fma_f64 v[22:23], v[64:65], v[26:27], v[16:17]
	v_mul_f64 v[16:17], v[66:67], v[26:27]
	v_fma_f64 v[26:27], v[64:65], v[28:29], -v[16:17]
	buffer_load_dword v64, off, s[36:39], 0 offset:1252 ; 4-byte Folded Reload
	buffer_load_dword v65, off, s[36:39], 0 offset:1256 ; 4-byte Folded Reload
	buffer_load_dword v66, off, s[36:39], 0 offset:1260 ; 4-byte Folded Reload
	buffer_load_dword v67, off, s[36:39], 0 offset:1264 ; 4-byte Folded Reload
	s_waitcnt vmcnt(0)
	v_mul_f64 v[16:17], v[66:67], v[32:33]
	v_fma_f64 v[28:29], v[64:65], v[30:31], v[16:17]
	v_mul_f64 v[16:17], v[66:67], v[30:31]
	v_fma_f64 v[16:17], v[64:65], v[32:33], -v[16:17]
	buffer_load_dword v64, off, s[36:39], 0 offset:1236 ; 4-byte Folded Reload
	buffer_load_dword v65, off, s[36:39], 0 offset:1240 ; 4-byte Folded Reload
	buffer_load_dword v66, off, s[36:39], 0 offset:1244 ; 4-byte Folded Reload
	buffer_load_dword v67, off, s[36:39], 0 offset:1248 ; 4-byte Folded Reload
	;; [unrolled: 9-line block ×5, first 2 shown]
	s_waitcnt vmcnt(0)
	v_mul_f64 v[24:25], v[50:51], v[54:55]
	v_fma_f64 v[40:41], v[48:49], v[52:53], v[24:25]
	v_mul_f64 v[24:25], v[50:51], v[52:53]
	v_fma_f64 v[141:142], v[48:49], v[54:55], -v[24:25]
	v_mul_f64 v[24:25], v[230:231], v[58:59]
	v_fma_f64 v[66:67], v[228:229], v[56:57], v[24:25]
	v_mul_f64 v[24:25], v[230:231], v[56:57]
	v_fma_f64 v[48:49], v[228:229], v[58:59], -v[24:25]
	v_mul_f64 v[24:25], v[234:235], v[62:63]
	v_fma_f64 v[76:77], v[232:233], v[60:61], v[24:25]
	v_mul_f64 v[24:25], v[234:235], v[60:61]
	v_fma_f64 v[68:69], v[232:233], v[62:63], -v[24:25]
	v_mul_f64 v[24:25], v[242:243], v[72:73]
	v_fma_f64 v[56:57], v[240:241], v[70:71], v[24:25]
	v_mul_f64 v[24:25], v[242:243], v[70:71]
	v_fma_f64 v[50:51], v[240:241], v[72:73], -v[24:25]
	v_mul_f64 v[24:25], v[246:247], v[82:83]
	v_fma_f64 v[78:79], v[244:245], v[80:81], v[24:25]
	v_mul_f64 v[24:25], v[246:247], v[80:81]
	v_fma_f64 v[70:71], v[244:245], v[82:83], -v[24:25]
	v_mul_f64 v[24:25], v[214:215], v[86:87]
	v_fma_f64 v[60:61], v[212:213], v[84:85], v[24:25]
	v_mul_f64 v[24:25], v[214:215], v[84:85]
	v_fma_f64 v[52:53], v[212:213], v[86:87], -v[24:25]
	s_waitcnt lgkmcnt(13)
	v_mul_f64 v[24:25], v[218:219], v[90:91]
	v_fma_f64 v[80:81], v[216:217], v[88:89], v[24:25]
	v_mul_f64 v[24:25], v[218:219], v[88:89]
	v_fma_f64 v[72:73], v[216:217], v[90:91], -v[24:25]
	s_waitcnt lgkmcnt(12)
	v_mul_f64 v[24:25], v[222:223], v[94:95]
	v_fma_f64 v[62:63], v[220:221], v[92:93], v[24:25]
	v_mul_f64 v[24:25], v[222:223], v[92:93]
	v_fma_f64 v[54:55], v[220:221], v[94:95], -v[24:25]
	;; [unrolled: 5-line block ×8, first 2 shown]
	s_waitcnt lgkmcnt(4)
	v_mul_f64 v[24:25], v[178:179], v[127:128]
	v_add_f64 v[123:124], v[26:27], -v[32:33]
	v_fma_f64 v[92:93], v[176:177], v[125:126], v[24:25]
	v_mul_f64 v[24:25], v[178:179], v[125:126]
	v_add_f64 v[125:126], v[137:138], -v[22:23]
	v_fma_f64 v[90:91], v[176:177], v[127:128], -v[24:25]
	s_waitcnt lgkmcnt(3)
	v_mul_f64 v[24:25], v[182:183], v[131:132]
	v_add_f64 v[127:128], v[36:37], -v[30:31]
	v_fma_f64 v[116:117], v[180:181], v[129:130], v[24:25]
	v_mul_f64 v[24:25], v[182:183], v[129:130]
	v_add_f64 v[125:126], v[125:126], v[127:128]
	v_add_f64 v[127:128], v[22:23], -v[137:138]
	v_add_f64 v[129:130], v[30:31], -v[36:37]
	v_fma_f64 v[108:109], v[180:181], v[131:132], -v[24:25]
	s_waitcnt lgkmcnt(2)
	v_mul_f64 v[24:25], v[186:187], v[135:136]
	v_add_f64 v[127:128], v[127:128], v[129:130]
	v_fma_f64 v[96:97], v[184:185], v[133:134], v[24:25]
	v_mul_f64 v[24:25], v[186:187], v[133:134]
	v_fma_f64 v[94:95], v[184:185], v[135:136], -v[24:25]
	s_waitcnt lgkmcnt(1)
	v_mul_f64 v[24:25], v[190:191], v[147:148]
	v_fma_f64 v[118:119], v[188:189], v[145:146], v[24:25]
	v_mul_f64 v[24:25], v[190:191], v[145:146]
	v_fma_f64 v[114:115], v[188:189], v[147:148], -v[24:25]
	s_waitcnt lgkmcnt(0)
	v_mul_f64 v[24:25], v[174:175], v[10:11]
	v_fma_f64 v[100:101], v[172:173], v[8:9], v[24:25]
	v_mul_f64 v[8:9], v[174:175], v[8:9]
	v_fma_f64 v[98:99], v[172:173], v[10:11], -v[8:9]
	v_add_f64 v[8:9], v[4:5], v[137:138]
	v_add_f64 v[10:11], v[139:140], -v[38:39]
	v_add_f64 v[8:9], v[8:9], v[22:23]
	v_add_f64 v[8:9], v[8:9], v[30:31]
	;; [unrolled: 1-line block ×4, first 2 shown]
	v_add_f64 v[22:23], v[22:23], -v[30:31]
	v_add_f64 v[30:31], v[139:140], -v[26:27]
	v_fma_f64 v[8:9], v[8:9], -0.5, v[4:5]
	v_fma_f64 v[121:122], v[10:11], s[8:9], v[8:9]
	v_fma_f64 v[8:9], v[10:11], s[2:3], v[8:9]
	;; [unrolled: 1-line block ×6, first 2 shown]
	v_add_f64 v[8:9], v[137:138], v[36:37]
	v_fma_f64 v[4:5], v[8:9], -0.5, v[4:5]
	v_fma_f64 v[8:9], v[123:124], s[2:3], v[4:5]
	v_fma_f64 v[4:5], v[123:124], s[8:9], v[4:5]
	;; [unrolled: 1-line block ×6, first 2 shown]
	v_add_f64 v[4:5], v[6:7], v[139:140]
	v_add_f64 v[8:9], v[137:138], -v[36:37]
	v_add_f64 v[36:37], v[38:39], -v[32:33]
	v_add_f64 v[4:5], v[4:5], v[26:27]
	v_add_f64 v[30:31], v[30:31], v[36:37]
	v_add_f64 v[36:37], v[40:41], -v[34:35]
	v_add_f64 v[4:5], v[4:5], v[32:33]
	v_add_f64 v[127:128], v[4:5], v[38:39]
	;; [unrolled: 1-line block ×3, first 2 shown]
	v_fma_f64 v[4:5], v[4:5], -0.5, v[6:7]
	v_fma_f64 v[10:11], v[8:9], s[2:3], v[4:5]
	v_fma_f64 v[4:5], v[8:9], s[8:9], v[4:5]
	;; [unrolled: 1-line block ×6, first 2 shown]
	v_add_f64 v[4:5], v[139:140], v[38:39]
	v_add_f64 v[10:11], v[26:27], -v[139:140]
	v_add_f64 v[26:27], v[32:33], -v[38:39]
	v_fma_f64 v[4:5], v[4:5], -0.5, v[6:7]
	v_add_f64 v[10:11], v[10:11], v[26:27]
	v_fma_f64 v[6:7], v[22:23], s[8:9], v[4:5]
	v_fma_f64 v[4:5], v[22:23], s[2:3], v[4:5]
	v_add_f64 v[22:23], v[20:21], -v[28:29]
	v_fma_f64 v[6:7], v[8:9], s[4:5], v[6:7]
	v_fma_f64 v[4:5], v[8:9], s[14:15], v[4:5]
	v_add_f64 v[22:23], v[22:23], v[36:37]
	v_fma_f64 v[26:27], v[10:11], s[6:7], v[6:7]
	v_fma_f64 v[30:31], v[10:11], s[6:7], v[4:5]
	v_add_f64 v[4:5], v[42:43], v[20:21]
	v_add_f64 v[6:7], v[14:15], -v[141:142]
	v_add_f64 v[10:11], v[16:17], -v[18:19]
	v_add_f64 v[4:5], v[4:5], v[28:29]
	v_add_f64 v[4:5], v[4:5], v[34:35]
	;; [unrolled: 1-line block ×4, first 2 shown]
	v_fma_f64 v[4:5], v[4:5], -0.5, v[42:43]
	v_fma_f64 v[8:9], v[6:7], s[8:9], v[4:5]
	v_fma_f64 v[4:5], v[6:7], s[2:3], v[4:5]
	;; [unrolled: 1-line block ×6, first 2 shown]
	v_add_f64 v[4:5], v[20:21], v[40:41]
	v_add_f64 v[22:23], v[28:29], -v[20:21]
	v_fma_f64 v[4:5], v[4:5], -0.5, v[42:43]
	v_add_f64 v[42:43], v[34:35], -v[40:41]
	v_fma_f64 v[8:9], v[10:11], s[2:3], v[4:5]
	v_fma_f64 v[4:5], v[10:11], s[8:9], v[4:5]
	v_add_f64 v[22:23], v[22:23], v[42:43]
	v_add_f64 v[10:11], v[28:29], -v[34:35]
	v_fma_f64 v[8:9], v[6:7], s[14:15], v[8:9]
	v_fma_f64 v[4:5], v[6:7], s[4:5], v[4:5]
	v_add_f64 v[6:7], v[20:21], -v[40:41]
	v_add_f64 v[20:21], v[14:15], -v[16:17]
	;; [unrolled: 1-line block ×3, first 2 shown]
	v_fma_f64 v[42:43], v[22:23], s[6:7], v[8:9]
	v_fma_f64 v[135:136], v[22:23], s[6:7], v[4:5]
	v_add_f64 v[4:5], v[12:13], v[14:15]
	v_add_f64 v[22:23], v[141:142], -v[18:19]
	v_add_f64 v[4:5], v[4:5], v[16:17]
	v_add_f64 v[20:21], v[20:21], v[22:23]
	;; [unrolled: 1-line block ×5, first 2 shown]
	v_fma_f64 v[4:5], v[4:5], -0.5, v[12:13]
	v_fma_f64 v[8:9], v[6:7], s[2:3], v[4:5]
	v_fma_f64 v[4:5], v[6:7], s[8:9], v[4:5]
	;; [unrolled: 1-line block ×6, first 2 shown]
	v_add_f64 v[4:5], v[14:15], v[141:142]
	v_fma_f64 v[4:5], v[4:5], -0.5, v[12:13]
	v_add_f64 v[12:13], v[16:17], -v[14:15]
	v_add_f64 v[14:15], v[18:19], -v[141:142]
	v_fma_f64 v[8:9], v[10:11], s[8:9], v[4:5]
	v_fma_f64 v[4:5], v[10:11], s[2:3], v[4:5]
	v_add_f64 v[12:13], v[12:13], v[14:15]
	v_mul_f64 v[10:11], v[22:23], s[16:17]
	v_fma_f64 v[8:9], v[6:7], s[4:5], v[8:9]
	v_fma_f64 v[4:5], v[6:7], s[14:15], v[4:5]
	v_mul_f64 v[6:7], v[22:23], s[14:15]
	v_fma_f64 v[145:146], v[36:37], s[4:5], v[10:11]
	v_fma_f64 v[14:15], v[12:13], s[6:7], v[8:9]
	;; [unrolled: 1-line block ×4, first 2 shown]
	v_add_f64 v[4:5], v[24:25], v[32:33]
	v_add_f64 v[10:11], v[131:132], v[145:146]
	v_mul_f64 v[6:7], v[14:15], s[8:9]
	v_mul_f64 v[14:15], v[14:15], s[6:7]
	v_add_f64 v[8:9], v[121:122], v[34:35]
	v_add_f64 v[36:37], v[121:122], -v[34:35]
	v_add_f64 v[121:122], v[44:45], v[76:77]
	v_fma_f64 v[139:140], v[42:43], s[6:7], v[6:7]
	v_mul_f64 v[6:7], v[18:19], s[8:9]
	v_fma_f64 v[147:148], v[42:43], s[2:3], v[14:15]
	v_mul_f64 v[14:15], v[18:19], s[18:19]
	v_add_f64 v[42:43], v[127:128], -v[137:138]
	v_add_f64 v[121:122], v[121:122], v[78:79]
	v_add_f64 v[20:21], v[129:130], v[139:140]
	v_fma_f64 v[141:142], v[135:136], s[18:19], v[6:7]
	v_mul_f64 v[6:7], v[28:29], s[14:15]
	v_fma_f64 v[135:136], v[135:136], s[2:3], v[14:15]
	v_mul_f64 v[14:15], v[28:29], s[20:21]
	v_add_f64 v[22:23], v[26:27], v[147:148]
	v_add_f64 v[32:33], v[129:130], -v[139:140]
	v_add_f64 v[34:35], v[26:27], -v[147:148]
	;; [unrolled: 1-line block ×3, first 2 shown]
	v_add_f64 v[16:17], v[123:124], v[141:142]
	v_fma_f64 v[143:144], v[38:39], s[20:21], v[6:7]
	v_add_f64 v[28:29], v[123:124], -v[141:142]
	v_add_f64 v[123:124], v[78:79], v[80:81]
	v_fma_f64 v[149:150], v[38:39], s[4:5], v[14:15]
	v_add_f64 v[6:7], v[127:128], v[137:138]
	v_add_f64 v[38:39], v[131:132], -v[145:146]
	v_add_f64 v[131:132], v[76:77], -v[78:79]
	v_add_f64 v[18:19], v[30:31], v[135:136]
	v_add_f64 v[12:13], v[125:126], v[143:144]
	v_add_f64 v[24:25], v[125:126], -v[143:144]
	v_fma_f64 v[123:124], v[123:124], -0.5, v[44:45]
	v_add_f64 v[125:126], v[68:69], -v[74:75]
	v_add_f64 v[14:15], v[133:134], v[149:150]
	v_add_f64 v[26:27], v[133:134], -v[149:150]
	v_add_f64 v[133:134], v[82:83], -v[80:81]
	;; [unrolled: 1-line block ×4, first 2 shown]
	v_add_f64 v[121:122], v[121:122], v[80:81]
	v_fma_f64 v[127:128], v[125:126], s[8:9], v[123:124]
	v_fma_f64 v[123:124], v[125:126], s[2:3], v[123:124]
	v_add_f64 v[131:132], v[131:132], v[133:134]
	v_add_f64 v[133:134], v[78:79], -v[76:77]
	v_add_f64 v[78:79], v[78:79], -v[80:81]
	v_add_f64 v[121:122], v[121:122], v[82:83]
	v_fma_f64 v[127:128], v[129:130], s[14:15], v[127:128]
	v_fma_f64 v[123:124], v[129:130], s[4:5], v[123:124]
	v_add_f64 v[133:134], v[133:134], v[135:136]
	v_fma_f64 v[127:128], v[131:132], s[6:7], v[127:128]
	v_fma_f64 v[123:124], v[131:132], s[6:7], v[123:124]
	v_add_f64 v[131:132], v[76:77], v[82:83]
	v_add_f64 v[76:77], v[76:77], -v[82:83]
	v_fma_f64 v[44:45], v[131:132], -0.5, v[44:45]
	v_fma_f64 v[131:132], v[129:130], s[2:3], v[44:45]
	v_fma_f64 v[44:45], v[129:130], s[8:9], v[44:45]
	;; [unrolled: 1-line block ×6, first 2 shown]
	v_add_f64 v[44:45], v[46:47], v[68:69]
	v_add_f64 v[133:134], v[74:75], -v[72:73]
	v_add_f64 v[44:45], v[44:45], v[70:71]
	v_add_f64 v[44:45], v[44:45], v[72:73]
	;; [unrolled: 1-line block ×4, first 2 shown]
	v_fma_f64 v[44:45], v[44:45], -0.5, v[46:47]
	v_fma_f64 v[82:83], v[76:77], s[2:3], v[44:45]
	v_fma_f64 v[44:45], v[76:77], s[8:9], v[44:45]
	;; [unrolled: 1-line block ×3, first 2 shown]
	v_add_f64 v[82:83], v[68:69], -v[70:71]
	v_fma_f64 v[44:45], v[78:79], s[14:15], v[44:45]
	v_add_f64 v[82:83], v[82:83], v[133:134]
	v_fma_f64 v[135:136], v[82:83], s[6:7], v[44:45]
	v_add_f64 v[44:45], v[68:69], v[74:75]
	v_add_f64 v[68:69], v[70:71], -v[68:69]
	v_add_f64 v[70:71], v[72:73], -v[74:75]
	;; [unrolled: 1-line block ×3, first 2 shown]
	v_fma_f64 v[133:134], v[82:83], s[6:7], v[80:81]
	v_add_f64 v[80:81], v[62:63], -v[64:65]
	v_fma_f64 v[44:45], v[44:45], -0.5, v[46:47]
	v_add_f64 v[68:69], v[68:69], v[70:71]
	v_fma_f64 v[46:47], v[78:79], s[8:9], v[44:45]
	v_fma_f64 v[44:45], v[78:79], s[2:3], v[44:45]
	v_add_f64 v[78:79], v[64:65], -v[62:63]
	v_fma_f64 v[46:47], v[76:77], s[4:5], v[46:47]
	v_fma_f64 v[44:45], v[76:77], s[14:15], v[44:45]
	v_add_f64 v[76:77], v[56:57], -v[60:61]
	v_fma_f64 v[70:71], v[68:69], s[6:7], v[46:47]
	v_fma_f64 v[137:138], v[68:69], s[6:7], v[44:45]
	v_add_f64 v[44:45], v[66:67], v[56:57]
	v_add_f64 v[46:47], v[50:51], -v[58:59]
	v_add_f64 v[76:77], v[76:77], v[78:79]
	v_add_f64 v[78:79], v[60:61], -v[56:57]
	v_add_f64 v[44:45], v[44:45], v[60:61]
	v_add_f64 v[78:79], v[78:79], v[80:81]
	;; [unrolled: 1-line block ×5, first 2 shown]
	v_add_f64 v[60:61], v[60:61], -v[62:63]
	v_add_f64 v[62:63], v[50:51], -v[52:53]
	v_fma_f64 v[44:45], v[44:45], -0.5, v[66:67]
	v_fma_f64 v[72:73], v[46:47], s[8:9], v[44:45]
	v_fma_f64 v[44:45], v[46:47], s[2:3], v[44:45]
	;; [unrolled: 1-line block ×6, first 2 shown]
	v_add_f64 v[44:45], v[56:57], v[64:65]
	v_fma_f64 v[44:45], v[44:45], -0.5, v[66:67]
	v_fma_f64 v[66:67], v[74:75], s[2:3], v[44:45]
	v_fma_f64 v[44:45], v[74:75], s[8:9], v[44:45]
	;; [unrolled: 1-line block ×4, first 2 shown]
	v_add_f64 v[46:47], v[56:57], -v[64:65]
	v_add_f64 v[64:65], v[58:59], -v[54:55]
	v_fma_f64 v[66:67], v[78:79], s[6:7], v[66:67]
	v_fma_f64 v[74:75], v[78:79], s[6:7], v[44:45]
	v_add_f64 v[44:45], v[48:49], v[50:51]
	v_add_f64 v[62:63], v[62:63], v[64:65]
	;; [unrolled: 1-line block ×6, first 2 shown]
	v_fma_f64 v[44:45], v[44:45], -0.5, v[48:49]
	v_fma_f64 v[56:57], v[46:47], s[2:3], v[44:45]
	v_fma_f64 v[44:45], v[46:47], s[8:9], v[44:45]
	;; [unrolled: 1-line block ×6, first 2 shown]
	v_add_f64 v[44:45], v[50:51], v[58:59]
	v_add_f64 v[50:51], v[52:53], -v[50:51]
	v_add_f64 v[52:53], v[54:55], -v[58:59]
	v_mul_f64 v[54:55], v[64:65], s[16:17]
	v_fma_f64 v[44:45], v[44:45], -0.5, v[48:49]
	v_add_f64 v[50:51], v[50:51], v[52:53]
	v_fma_f64 v[145:146], v[72:73], s[4:5], v[54:55]
	v_fma_f64 v[48:49], v[60:61], s[8:9], v[44:45]
	v_fma_f64 v[44:45], v[60:61], s[2:3], v[44:45]
	v_add_f64 v[54:55], v[133:134], v[145:146]
	v_fma_f64 v[48:49], v[46:47], s[4:5], v[48:49]
	v_fma_f64 v[44:45], v[46:47], s[14:15], v[44:45]
	v_mul_f64 v[46:47], v[64:65], s[14:15]
	v_fma_f64 v[58:59], v[50:51], s[6:7], v[48:49]
	v_fma_f64 v[50:51], v[50:51], s[6:7], v[44:45]
	;; [unrolled: 1-line block ×3, first 2 shown]
	v_add_f64 v[44:45], v[121:122], v[68:69]
	v_mul_f64 v[46:47], v[58:59], s[8:9]
	v_mul_f64 v[58:59], v[58:59], s[6:7]
	v_add_f64 v[52:53], v[127:128], v[82:83]
	v_fma_f64 v[139:140], v[66:67], s[6:7], v[46:47]
	v_mul_f64 v[46:47], v[50:51], s[8:9]
	v_mul_f64 v[50:51], v[50:51], s[18:19]
	v_fma_f64 v[66:67], v[66:67], s[2:3], v[58:59]
	v_add_f64 v[60:61], v[131:132], v[139:140]
	v_fma_f64 v[141:142], v[74:75], s[18:19], v[46:47]
	v_mul_f64 v[46:47], v[80:81], s[14:15]
	v_fma_f64 v[147:148], v[74:75], s[2:3], v[50:51]
	v_mul_f64 v[50:51], v[80:81], s[20:21]
	v_add_f64 v[80:81], v[121:122], -v[68:69]
	v_add_f64 v[72:73], v[131:132], -v[139:140]
	;; [unrolled: 1-line block ×3, first 2 shown]
	v_add_f64 v[121:122], v[0:1], v[110:111]
	v_add_f64 v[56:57], v[125:126], v[141:142]
	v_fma_f64 v[143:144], v[76:77], s[20:21], v[46:47]
	v_add_f64 v[68:69], v[125:126], -v[141:142]
	v_add_f64 v[125:126], v[104:105], -v[114:115]
	v_add_f64 v[46:47], v[129:130], v[78:79]
	v_fma_f64 v[149:150], v[76:77], s[4:5], v[50:51]
	v_add_f64 v[76:77], v[127:128], -v[82:83]
	v_add_f64 v[82:83], v[129:130], -v[78:79]
	;; [unrolled: 1-line block ×3, first 2 shown]
	v_add_f64 v[48:49], v[123:124], v[143:144]
	v_add_f64 v[64:65], v[123:124], -v[143:144]
	v_add_f64 v[123:124], v[112:113], v[116:117]
	v_add_f64 v[129:130], v[106:107], -v[108:109]
	v_add_f64 v[133:134], v[118:119], -v[116:117]
	v_add_f64 v[62:63], v[70:71], v[66:67]
	v_add_f64 v[50:51], v[135:136], v[149:150]
	v_add_f64 v[74:75], v[70:71], -v[66:67]
	v_add_f64 v[66:67], v[135:136], -v[149:150]
	;; [unrolled: 1-line block ×3, first 2 shown]
	v_fma_f64 v[123:124], v[123:124], -0.5, v[0:1]
	v_add_f64 v[121:122], v[121:122], v[112:113]
	v_add_f64 v[131:132], v[131:132], v[133:134]
	v_add_f64 v[133:134], v[112:113], -v[110:111]
	v_add_f64 v[112:113], v[112:113], -v[116:117]
	v_add_f64 v[58:59], v[137:138], v[147:148]
	v_add_f64 v[70:71], v[137:138], -v[147:148]
	v_fma_f64 v[127:128], v[125:126], s[8:9], v[123:124]
	v_fma_f64 v[123:124], v[125:126], s[2:3], v[123:124]
	v_add_f64 v[121:122], v[121:122], v[116:117]
	v_add_f64 v[133:134], v[133:134], v[135:136]
	v_add_f64 v[135:136], v[96:97], -v[100:101]
	v_fma_f64 v[127:128], v[129:130], s[14:15], v[127:128]
	v_fma_f64 v[123:124], v[129:130], s[4:5], v[123:124]
	v_add_f64 v[121:122], v[121:122], v[118:119]
	v_fma_f64 v[127:128], v[131:132], s[6:7], v[127:128]
	v_fma_f64 v[123:124], v[131:132], s[6:7], v[123:124]
	v_add_f64 v[131:132], v[110:111], v[118:119]
	v_add_f64 v[110:111], v[110:111], -v[118:119]
	v_fma_f64 v[0:1], v[131:132], -0.5, v[0:1]
	v_fma_f64 v[131:132], v[129:130], s[2:3], v[0:1]
	v_fma_f64 v[0:1], v[129:130], s[8:9], v[0:1]
	;; [unrolled: 1-line block ×6, first 2 shown]
	v_add_f64 v[0:1], v[2:3], v[104:105]
	v_add_f64 v[133:134], v[114:115], -v[108:109]
	v_add_f64 v[0:1], v[0:1], v[106:107]
	v_add_f64 v[0:1], v[0:1], v[108:109]
	;; [unrolled: 1-line block ×4, first 2 shown]
	v_fma_f64 v[0:1], v[0:1], -0.5, v[2:3]
	v_fma_f64 v[118:119], v[110:111], s[2:3], v[0:1]
	v_fma_f64 v[0:1], v[110:111], s[8:9], v[0:1]
	;; [unrolled: 1-line block ×3, first 2 shown]
	v_add_f64 v[118:119], v[104:105], -v[106:107]
	v_fma_f64 v[0:1], v[112:113], s[14:15], v[0:1]
	v_add_f64 v[118:119], v[118:119], v[133:134]
	v_fma_f64 v[133:134], v[118:119], s[6:7], v[116:117]
	v_add_f64 v[116:117], v[104:105], v[114:115]
	v_add_f64 v[104:105], v[106:107], -v[104:105]
	v_add_f64 v[106:107], v[108:109], -v[114:115]
	;; [unrolled: 1-line block ×3, first 2 shown]
	v_fma_f64 v[0:1], v[118:119], s[6:7], v[0:1]
	v_add_f64 v[118:119], v[100:101], -v[96:97]
	v_fma_f64 v[2:3], v[116:117], -0.5, v[2:3]
	v_add_f64 v[104:105], v[104:105], v[106:107]
	v_add_f64 v[106:107], v[92:93], v[96:97]
	v_fma_f64 v[116:117], v[112:113], s[8:9], v[2:3]
	v_fma_f64 v[2:3], v[112:113], s[2:3], v[2:3]
	v_add_f64 v[112:113], v[90:91], -v[94:95]
	v_fma_f64 v[106:107], v[106:107], -0.5, v[102:103]
	v_fma_f64 v[116:117], v[110:111], s[4:5], v[116:117]
	v_fma_f64 v[2:3], v[110:111], s[14:15], v[2:3]
	;; [unrolled: 1-line block ×5, first 2 shown]
	v_add_f64 v[116:117], v[88:89], -v[92:93]
	v_fma_f64 v[2:3], v[104:105], s[6:7], v[2:3]
	v_fma_f64 v[110:111], v[112:113], s[14:15], v[110:111]
	;; [unrolled: 1-line block ×3, first 2 shown]
	v_add_f64 v[104:105], v[102:103], v[88:89]
	v_add_f64 v[116:117], v[116:117], v[118:119]
	v_add_f64 v[118:119], v[92:93], -v[88:89]
	v_add_f64 v[104:105], v[104:105], v[92:93]
	v_add_f64 v[92:93], v[92:93], -v[96:97]
	v_fma_f64 v[110:111], v[116:117], s[6:7], v[110:111]
	v_fma_f64 v[106:107], v[116:117], s[6:7], v[106:107]
	v_add_f64 v[116:117], v[88:89], v[100:101]
	v_add_f64 v[118:119], v[118:119], v[135:136]
	;; [unrolled: 1-line block ×3, first 2 shown]
	v_add_f64 v[88:89], v[88:89], -v[100:101]
	v_fma_f64 v[102:103], v[116:117], -0.5, v[102:103]
	v_add_f64 v[104:105], v[104:105], v[100:101]
	v_fma_f64 v[116:117], v[112:113], s[2:3], v[102:103]
	v_fma_f64 v[102:103], v[112:113], s[8:9], v[102:103]
	v_add_f64 v[112:113], v[98:99], -v[94:95]
	v_fma_f64 v[116:117], v[108:109], s[14:15], v[116:117]
	v_fma_f64 v[102:103], v[108:109], s[4:5], v[102:103]
	v_add_f64 v[108:109], v[84:85], v[86:87]
	v_fma_f64 v[116:117], v[118:119], s[6:7], v[116:117]
	v_fma_f64 v[102:103], v[118:119], s[6:7], v[102:103]
	v_add_f64 v[108:109], v[108:109], v[90:91]
	v_add_f64 v[108:109], v[108:109], v[94:95]
	;; [unrolled: 1-line block ×4, first 2 shown]
	v_fma_f64 v[108:109], v[108:109], -0.5, v[84:85]
	v_fma_f64 v[100:101], v[88:89], s[2:3], v[108:109]
	v_fma_f64 v[96:97], v[92:93], s[4:5], v[100:101]
	v_add_f64 v[100:101], v[86:87], -v[90:91]
	v_add_f64 v[100:101], v[100:101], v[112:113]
	v_fma_f64 v[112:113], v[100:101], s[6:7], v[96:97]
	v_fma_f64 v[96:97], v[88:89], s[8:9], v[108:109]
	;; [unrolled: 1-line block ×4, first 2 shown]
	v_add_f64 v[96:97], v[86:87], v[98:99]
	v_add_f64 v[86:87], v[90:91], -v[86:87]
	v_add_f64 v[90:91], v[94:95], -v[98:99]
	v_fma_f64 v[84:85], v[96:97], -0.5, v[84:85]
	v_add_f64 v[86:87], v[86:87], v[90:91]
	v_mul_f64 v[90:91], v[112:113], s[16:17]
	v_fma_f64 v[96:97], v[92:93], s[8:9], v[84:85]
	v_fma_f64 v[84:85], v[92:93], s[2:3], v[84:85]
	;; [unrolled: 1-line block ×6, first 2 shown]
	v_mul_f64 v[86:87], v[112:113], s[14:15]
	v_add_f64 v[84:85], v[121:122], v[104:105]
	v_add_f64 v[104:105], v[121:122], -v[104:105]
	v_fma_f64 v[135:136], v[110:111], s[16:17], v[86:87]
	v_mul_f64 v[86:87], v[94:95], s[8:9]
	v_mul_f64 v[94:95], v[94:95], s[6:7]
	v_fma_f64 v[110:111], v[110:111], s[4:5], v[90:91]
	v_add_f64 v[88:89], v[127:128], v[135:136]
	v_fma_f64 v[137:138], v[116:117], s[6:7], v[86:87]
	v_mul_f64 v[86:87], v[98:99], s[8:9]
	v_mul_f64 v[98:99], v[98:99], s[18:19]
	v_fma_f64 v[143:144], v[116:117], s[2:3], v[94:95]
	v_add_f64 v[90:91], v[133:134], v[110:111]
	v_add_f64 v[110:111], v[133:134], -v[110:111]
	v_add_f64 v[92:93], v[131:132], v[137:138]
	v_fma_f64 v[139:140], v[102:103], s[18:19], v[86:87]
	v_mul_f64 v[86:87], v[108:109], s[14:15]
	v_fma_f64 v[145:146], v[102:103], s[2:3], v[98:99]
	v_mul_f64 v[102:103], v[108:109], s[20:21]
	v_add_f64 v[94:95], v[114:115], v[143:144]
	v_add_f64 v[108:109], v[127:128], -v[135:136]
	v_add_f64 v[112:113], v[131:132], -v[137:138]
	;; [unrolled: 1-line block ×3, first 2 shown]
	v_add_f64 v[96:97], v[125:126], v[139:140]
	v_fma_f64 v[141:142], v[106:107], s[20:21], v[86:87]
	v_add_f64 v[86:87], v[129:130], v[118:119]
	v_fma_f64 v[147:148], v[106:107], s[4:5], v[102:103]
	v_add_f64 v[98:99], v[2:3], v[145:146]
	v_add_f64 v[116:117], v[125:126], -v[139:140]
	v_add_f64 v[106:107], v[129:130], -v[118:119]
	;; [unrolled: 1-line block ×3, first 2 shown]
	s_mov_b32 s2, 0xc3ece2a5
	v_add_f64 v[100:101], v[123:124], v[141:142]
	v_add_f64 v[121:122], v[123:124], -v[141:142]
	v_add_f64 v[102:103], v[0:1], v[147:148]
	v_add_f64 v[123:124], v[0:1], -v[147:148]
	ds_write_b128 v120, v[4:7]
	ds_write_b128 v120, v[8:11] offset:4800
	ds_write_b128 v120, v[20:23] offset:9600
	;; [unrolled: 1-line block ×29, first 2 shown]
	s_waitcnt lgkmcnt(0)
	s_barrier
	ds_read_b128 v[0:3], v120
	buffer_load_dword v6, off, s[36:39], 0 offset:24 ; 4-byte Folded Reload
	buffer_load_dword v7, off, s[36:39], 0 offset:28 ; 4-byte Folded Reload
	;; [unrolled: 1-line block ×4, first 2 shown]
	s_mov_b32 s3, 0x3f35d867
	s_waitcnt vmcnt(0) lgkmcnt(0)
	v_mul_f64 v[4:5], v[8:9], v[2:3]
	v_fma_f64 v[4:5], v[6:7], v[0:1], v[4:5]
	v_mul_f64 v[0:1], v[8:9], v[0:1]
	v_mov_b32_e32 v8, s13
	v_mul_f64 v[4:5], v[4:5], s[2:3]
	v_fma_f64 v[0:1], v[6:7], v[2:3], -v[0:1]
	buffer_load_dword v2, off, s[36:39], 0 offset:488 ; 4-byte Folded Reload
	v_mul_f64 v[6:7], v[0:1], s[2:3]
	s_waitcnt vmcnt(0)
	v_mad_u64_u32 v[0:1], s[4:5], s0, v2, 0
	v_mad_u64_u32 v[1:2], s[4:5], s1, v2, v[1:2]
	buffer_load_dword v2, off, s[36:39], 0 offset:16 ; 4-byte Folded Reload
	buffer_load_dword v3, off, s[36:39], 0 offset:20 ; 4-byte Folded Reload
	s_mul_i32 s4, s1, 0x12c0
	v_lshlrev_b64 v[0:1], 4, v[0:1]
	s_mul_hi_u32 s5, s0, 0x12c0
	s_add_i32 s4, s5, s4
	s_mul_i32 s5, s0, 0x12c0
	s_mul_i32 s1, s1, 0xffff5d80
	s_sub_i32 s1, s1, s0
	s_waitcnt vmcnt(0)
	v_lshlrev_b64 v[2:3], 4, v[2:3]
	v_add_co_u32_e32 v2, vcc, s12, v2
	v_addc_co_u32_e32 v3, vcc, v8, v3, vcc
	v_add_co_u32_e32 v8, vcc, v2, v0
	v_addc_co_u32_e32 v9, vcc, v3, v1, vcc
	global_store_dwordx4 v[8:9], v[4:7], off
	ds_read_b128 v[0:3], v120 offset:4800
	buffer_load_dword v10, off, s[36:39], 0 offset:40 ; 4-byte Folded Reload
	buffer_load_dword v11, off, s[36:39], 0 offset:44 ; 4-byte Folded Reload
	buffer_load_dword v12, off, s[36:39], 0 offset:48 ; 4-byte Folded Reload
	buffer_load_dword v13, off, s[36:39], 0 offset:52 ; 4-byte Folded Reload
	v_add_co_u32_e32 v8, vcc, s5, v8
	s_waitcnt vmcnt(0) lgkmcnt(0)
	v_mul_f64 v[4:5], v[12:13], v[2:3]
	v_fma_f64 v[4:5], v[10:11], v[0:1], v[4:5]
	v_mul_f64 v[0:1], v[12:13], v[0:1]
	v_mul_f64 v[4:5], v[4:5], s[2:3]
	v_fma_f64 v[0:1], v[10:11], v[2:3], -v[0:1]
	v_mul_f64 v[6:7], v[0:1], s[2:3]
	v_mov_b32_e32 v0, s4
	v_addc_co_u32_e32 v9, vcc, v9, v0, vcc
	ds_read_b128 v[0:3], v120 offset:9600
	global_store_dwordx4 v[8:9], v[4:7], off
	buffer_load_dword v10, off, s[36:39], 0 offset:56 ; 4-byte Folded Reload
	buffer_load_dword v11, off, s[36:39], 0 offset:60 ; 4-byte Folded Reload
	buffer_load_dword v12, off, s[36:39], 0 offset:64 ; 4-byte Folded Reload
	buffer_load_dword v13, off, s[36:39], 0 offset:68 ; 4-byte Folded Reload
	v_add_co_u32_e32 v8, vcc, s5, v8
	s_waitcnt vmcnt(0) lgkmcnt(0)
	v_mul_f64 v[4:5], v[12:13], v[2:3]
	v_fma_f64 v[4:5], v[10:11], v[0:1], v[4:5]
	v_mul_f64 v[0:1], v[12:13], v[0:1]
	v_mul_f64 v[4:5], v[4:5], s[2:3]
	v_fma_f64 v[0:1], v[10:11], v[2:3], -v[0:1]
	v_mul_f64 v[6:7], v[0:1], s[2:3]
	v_mov_b32_e32 v0, s4
	v_addc_co_u32_e32 v9, vcc, v9, v0, vcc
	ds_read_b128 v[0:3], v120 offset:14400
	global_store_dwordx4 v[8:9], v[4:7], off
	;; [unrolled: 16-line block ×9, first 2 shown]
	buffer_load_dword v10, off, s[36:39], 0 offset:184 ; 4-byte Folded Reload
	buffer_load_dword v11, off, s[36:39], 0 offset:188 ; 4-byte Folded Reload
	;; [unrolled: 1-line block ×4, first 2 shown]
	s_waitcnt vmcnt(0) lgkmcnt(0)
	v_mul_f64 v[4:5], v[12:13], v[2:3]
	v_fma_f64 v[4:5], v[10:11], v[0:1], v[4:5]
	v_mul_f64 v[0:1], v[12:13], v[0:1]
	v_mul_f64 v[4:5], v[4:5], s[2:3]
	v_fma_f64 v[0:1], v[10:11], v[2:3], -v[0:1]
	v_mov_b32_e32 v10, 0xffff5d80
	v_mad_u64_u32 v[8:9], s[6:7], s0, v10, v[8:9]
	v_add_u32_e32 v9, s1, v9
	v_mul_f64 v[6:7], v[0:1], s[2:3]
	ds_read_b128 v[0:3], v120 offset:6400
	global_store_dwordx4 v[8:9], v[4:7], off
	buffer_load_dword v11, off, s[36:39], 0 offset:200 ; 4-byte Folded Reload
	buffer_load_dword v12, off, s[36:39], 0 offset:204 ; 4-byte Folded Reload
	buffer_load_dword v13, off, s[36:39], 0 offset:208 ; 4-byte Folded Reload
	buffer_load_dword v14, off, s[36:39], 0 offset:212 ; 4-byte Folded Reload
	v_add_co_u32_e32 v8, vcc, s5, v8
	s_waitcnt vmcnt(0) lgkmcnt(0)
	v_mul_f64 v[4:5], v[13:14], v[2:3]
	v_fma_f64 v[4:5], v[11:12], v[0:1], v[4:5]
	v_mul_f64 v[0:1], v[13:14], v[0:1]
	v_mul_f64 v[4:5], v[4:5], s[2:3]
	v_fma_f64 v[0:1], v[11:12], v[2:3], -v[0:1]
	v_mul_f64 v[6:7], v[0:1], s[2:3]
	v_mov_b32_e32 v0, s4
	v_addc_co_u32_e32 v9, vcc, v9, v0, vcc
	ds_read_b128 v[0:3], v120 offset:11200
	global_store_dwordx4 v[8:9], v[4:7], off
	buffer_load_dword v11, off, s[36:39], 0 offset:248 ; 4-byte Folded Reload
	buffer_load_dword v12, off, s[36:39], 0 offset:252 ; 4-byte Folded Reload
	buffer_load_dword v13, off, s[36:39], 0 offset:256 ; 4-byte Folded Reload
	buffer_load_dword v14, off, s[36:39], 0 offset:260 ; 4-byte Folded Reload
	v_add_co_u32_e32 v8, vcc, s5, v8
	s_waitcnt vmcnt(0) lgkmcnt(0)
	v_mul_f64 v[4:5], v[13:14], v[2:3]
	v_fma_f64 v[4:5], v[11:12], v[0:1], v[4:5]
	v_mul_f64 v[0:1], v[13:14], v[0:1]
	v_mul_f64 v[4:5], v[4:5], s[2:3]
	v_fma_f64 v[0:1], v[11:12], v[2:3], -v[0:1]
	v_mul_f64 v[6:7], v[0:1], s[2:3]
	v_mov_b32_e32 v0, s4
	v_addc_co_u32_e32 v9, vcc, v9, v0, vcc
	;; [unrolled: 16-line block ×9, first 2 shown]
	ds_read_b128 v[0:3], v120 offset:3200
	global_store_dwordx4 v[8:9], v[4:7], off
	buffer_load_dword v11, off, s[36:39], 0 offset:232 ; 4-byte Folded Reload
	buffer_load_dword v12, off, s[36:39], 0 offset:236 ; 4-byte Folded Reload
	;; [unrolled: 1-line block ×4, first 2 shown]
	v_mad_u64_u32 v[8:9], s[6:7], s0, v10, v[8:9]
	v_add_u32_e32 v9, s1, v9
	s_waitcnt vmcnt(0) lgkmcnt(0)
	v_mul_f64 v[4:5], v[13:14], v[2:3]
	v_fma_f64 v[4:5], v[11:12], v[0:1], v[4:5]
	v_mul_f64 v[0:1], v[13:14], v[0:1]
	v_mul_f64 v[4:5], v[4:5], s[2:3]
	v_fma_f64 v[0:1], v[11:12], v[2:3], -v[0:1]
	v_mul_f64 v[6:7], v[0:1], s[2:3]
	ds_read_b128 v[0:3], v120 offset:8000
	global_store_dwordx4 v[8:9], v[4:7], off
	buffer_load_dword v10, off, s[36:39], 0 offset:216 ; 4-byte Folded Reload
	buffer_load_dword v11, off, s[36:39], 0 offset:220 ; 4-byte Folded Reload
	buffer_load_dword v12, off, s[36:39], 0 offset:224 ; 4-byte Folded Reload
	buffer_load_dword v13, off, s[36:39], 0 offset:228 ; 4-byte Folded Reload
	v_add_co_u32_e32 v8, vcc, s5, v8
	s_waitcnt vmcnt(0) lgkmcnt(0)
	v_mul_f64 v[4:5], v[12:13], v[2:3]
	v_fma_f64 v[4:5], v[10:11], v[0:1], v[4:5]
	v_mul_f64 v[0:1], v[12:13], v[0:1]
	v_mul_f64 v[4:5], v[4:5], s[2:3]
	v_fma_f64 v[0:1], v[10:11], v[2:3], -v[0:1]
	v_mul_f64 v[6:7], v[0:1], s[2:3]
	v_mov_b32_e32 v0, s4
	v_addc_co_u32_e32 v9, vcc, v9, v0, vcc
	ds_read_b128 v[0:3], v120 offset:12800
	global_store_dwordx4 v[8:9], v[4:7], off
	buffer_load_dword v10, off, s[36:39], 0 offset:424 ; 4-byte Folded Reload
	buffer_load_dword v11, off, s[36:39], 0 offset:428 ; 4-byte Folded Reload
	buffer_load_dword v12, off, s[36:39], 0 offset:432 ; 4-byte Folded Reload
	buffer_load_dword v13, off, s[36:39], 0 offset:436 ; 4-byte Folded Reload
	v_add_co_u32_e32 v8, vcc, s5, v8
	s_waitcnt vmcnt(0) lgkmcnt(0)
	v_mul_f64 v[4:5], v[12:13], v[2:3]
	v_fma_f64 v[4:5], v[10:11], v[0:1], v[4:5]
	v_mul_f64 v[0:1], v[12:13], v[0:1]
	v_mul_f64 v[4:5], v[4:5], s[2:3]
	v_fma_f64 v[0:1], v[10:11], v[2:3], -v[0:1]
	v_mul_f64 v[6:7], v[0:1], s[2:3]
	v_mov_b32_e32 v0, s4
	v_addc_co_u32_e32 v9, vcc, v9, v0, vcc
	;; [unrolled: 16-line block ×7, first 2 shown]
	ds_read_b128 v[0:3], v120 offset:41600
	global_store_dwordx4 v[8:9], v[4:7], off
	buffer_load_dword v10, off, s[36:39], 0 offset:472 ; 4-byte Folded Reload
	buffer_load_dword v11, off, s[36:39], 0 offset:476 ; 4-byte Folded Reload
	;; [unrolled: 1-line block ×4, first 2 shown]
	s_waitcnt vmcnt(0) lgkmcnt(0)
	v_mul_f64 v[4:5], v[12:13], v[2:3]
	v_fma_f64 v[4:5], v[10:11], v[0:1], v[4:5]
	v_mul_f64 v[0:1], v[12:13], v[0:1]
	v_mul_f64 v[4:5], v[4:5], s[2:3]
	v_fma_f64 v[0:1], v[10:11], v[2:3], -v[0:1]
	v_mul_f64 v[6:7], v[0:1], s[2:3]
	v_add_co_u32_e32 v0, vcc, s5, v8
	v_mov_b32_e32 v1, s4
	v_addc_co_u32_e32 v1, vcc, v9, v1, vcc
	global_store_dwordx4 v[0:1], v[4:7], off
	ds_read_b128 v[2:5], v120 offset:46400
	buffer_load_dword v8, off, s[36:39], 0  ; 4-byte Folded Reload
	buffer_load_dword v9, off, s[36:39], 0 offset:4 ; 4-byte Folded Reload
	buffer_load_dword v10, off, s[36:39], 0 offset:8 ; 4-byte Folded Reload
	;; [unrolled: 1-line block ×3, first 2 shown]
	v_add_co_u32_e32 v0, vcc, s5, v0
	s_waitcnt vmcnt(0) lgkmcnt(0)
	v_mul_f64 v[6:7], v[10:11], v[4:5]
	v_fma_f64 v[6:7], v[8:9], v[2:3], v[6:7]
	v_mul_f64 v[2:3], v[10:11], v[2:3]
	v_mul_f64 v[6:7], v[6:7], s[2:3]
	v_fma_f64 v[2:3], v[8:9], v[4:5], -v[2:3]
	v_mul_f64 v[8:9], v[2:3], s[2:3]
	v_mov_b32_e32 v2, s4
	v_addc_co_u32_e32 v1, vcc, v1, v2, vcc
	global_store_dwordx4 v[0:1], v[6:9], off
.LBB0_2:
	s_endpgm
	.section	.rodata,"a",@progbits
	.p2align	6, 0x0
	.amdhsa_kernel bluestein_single_fwd_len3000_dim1_dp_op_CI_CI
		.amdhsa_group_segment_fixed_size 48000
		.amdhsa_private_segment_fixed_size 1408
		.amdhsa_kernarg_size 104
		.amdhsa_user_sgpr_count 6
		.amdhsa_user_sgpr_private_segment_buffer 1
		.amdhsa_user_sgpr_dispatch_ptr 0
		.amdhsa_user_sgpr_queue_ptr 0
		.amdhsa_user_sgpr_kernarg_segment_ptr 1
		.amdhsa_user_sgpr_dispatch_id 0
		.amdhsa_user_sgpr_flat_scratch_init 0
		.amdhsa_user_sgpr_private_segment_size 0
		.amdhsa_uses_dynamic_stack 0
		.amdhsa_system_sgpr_private_segment_wavefront_offset 1
		.amdhsa_system_sgpr_workgroup_id_x 1
		.amdhsa_system_sgpr_workgroup_id_y 0
		.amdhsa_system_sgpr_workgroup_id_z 0
		.amdhsa_system_sgpr_workgroup_info 0
		.amdhsa_system_vgpr_workitem_id 0
		.amdhsa_next_free_vgpr 256
		.amdhsa_next_free_sgpr 40
		.amdhsa_reserve_vcc 1
		.amdhsa_reserve_flat_scratch 0
		.amdhsa_float_round_mode_32 0
		.amdhsa_float_round_mode_16_64 0
		.amdhsa_float_denorm_mode_32 3
		.amdhsa_float_denorm_mode_16_64 3
		.amdhsa_dx10_clamp 1
		.amdhsa_ieee_mode 1
		.amdhsa_fp16_overflow 0
		.amdhsa_exception_fp_ieee_invalid_op 0
		.amdhsa_exception_fp_denorm_src 0
		.amdhsa_exception_fp_ieee_div_zero 0
		.amdhsa_exception_fp_ieee_overflow 0
		.amdhsa_exception_fp_ieee_underflow 0
		.amdhsa_exception_fp_ieee_inexact 0
		.amdhsa_exception_int_div_zero 0
	.end_amdhsa_kernel
	.text
.Lfunc_end0:
	.size	bluestein_single_fwd_len3000_dim1_dp_op_CI_CI, .Lfunc_end0-bluestein_single_fwd_len3000_dim1_dp_op_CI_CI
                                        ; -- End function
	.section	.AMDGPU.csdata,"",@progbits
; Kernel info:
; codeLenInByte = 47528
; NumSgprs: 44
; NumVgprs: 256
; ScratchSize: 1408
; MemoryBound: 0
; FloatMode: 240
; IeeeMode: 1
; LDSByteSize: 48000 bytes/workgroup (compile time only)
; SGPRBlocks: 5
; VGPRBlocks: 63
; NumSGPRsForWavesPerEU: 44
; NumVGPRsForWavesPerEU: 256
; Occupancy: 1
; WaveLimiterHint : 1
; COMPUTE_PGM_RSRC2:SCRATCH_EN: 1
; COMPUTE_PGM_RSRC2:USER_SGPR: 6
; COMPUTE_PGM_RSRC2:TRAP_HANDLER: 0
; COMPUTE_PGM_RSRC2:TGID_X_EN: 1
; COMPUTE_PGM_RSRC2:TGID_Y_EN: 0
; COMPUTE_PGM_RSRC2:TGID_Z_EN: 0
; COMPUTE_PGM_RSRC2:TIDIG_COMP_CNT: 0
	.type	__hip_cuid_fda29dad8e05ab07,@object ; @__hip_cuid_fda29dad8e05ab07
	.section	.bss,"aw",@nobits
	.globl	__hip_cuid_fda29dad8e05ab07
__hip_cuid_fda29dad8e05ab07:
	.byte	0                               ; 0x0
	.size	__hip_cuid_fda29dad8e05ab07, 1

	.ident	"AMD clang version 19.0.0git (https://github.com/RadeonOpenCompute/llvm-project roc-6.4.0 25133 c7fe45cf4b819c5991fe208aaa96edf142730f1d)"
	.section	".note.GNU-stack","",@progbits
	.addrsig
	.addrsig_sym __hip_cuid_fda29dad8e05ab07
	.amdgpu_metadata
---
amdhsa.kernels:
  - .args:
      - .actual_access:  read_only
        .address_space:  global
        .offset:         0
        .size:           8
        .value_kind:     global_buffer
      - .actual_access:  read_only
        .address_space:  global
        .offset:         8
        .size:           8
        .value_kind:     global_buffer
      - .actual_access:  read_only
        .address_space:  global
        .offset:         16
        .size:           8
        .value_kind:     global_buffer
      - .actual_access:  read_only
        .address_space:  global
        .offset:         24
        .size:           8
        .value_kind:     global_buffer
      - .actual_access:  read_only
        .address_space:  global
        .offset:         32
        .size:           8
        .value_kind:     global_buffer
      - .offset:         40
        .size:           8
        .value_kind:     by_value
      - .address_space:  global
        .offset:         48
        .size:           8
        .value_kind:     global_buffer
      - .address_space:  global
        .offset:         56
        .size:           8
        .value_kind:     global_buffer
      - .address_space:  global
        .offset:         64
        .size:           8
        .value_kind:     global_buffer
      - .address_space:  global
        .offset:         72
        .size:           8
        .value_kind:     global_buffer
      - .offset:         80
        .size:           4
        .value_kind:     by_value
      - .address_space:  global
        .offset:         88
        .size:           8
        .value_kind:     global_buffer
      - .address_space:  global
        .offset:         96
        .size:           8
        .value_kind:     global_buffer
    .group_segment_fixed_size: 48000
    .kernarg_segment_align: 8
    .kernarg_segment_size: 104
    .language:       OpenCL C
    .language_version:
      - 2
      - 0
    .max_flat_workgroup_size: 100
    .name:           bluestein_single_fwd_len3000_dim1_dp_op_CI_CI
    .private_segment_fixed_size: 1408
    .sgpr_count:     44
    .sgpr_spill_count: 0
    .symbol:         bluestein_single_fwd_len3000_dim1_dp_op_CI_CI.kd
    .uniform_work_group_size: 1
    .uses_dynamic_stack: false
    .vgpr_count:     256
    .vgpr_spill_count: 351
    .wavefront_size: 64
amdhsa.target:   amdgcn-amd-amdhsa--gfx906
amdhsa.version:
  - 1
  - 2
...

	.end_amdgpu_metadata
